;; amdgpu-corpus repo=ROCm/rocFFT kind=compiled arch=gfx1201 opt=O3
	.text
	.amdgcn_target "amdgcn-amd-amdhsa--gfx1201"
	.amdhsa_code_object_version 6
	.protected	fft_rtc_fwd_len1782_factors_11_3_3_3_3_2_wgs_99_tpt_99_halfLds_dp_ip_CI_unitstride_sbrr_R2C_dirReg ; -- Begin function fft_rtc_fwd_len1782_factors_11_3_3_3_3_2_wgs_99_tpt_99_halfLds_dp_ip_CI_unitstride_sbrr_R2C_dirReg
	.globl	fft_rtc_fwd_len1782_factors_11_3_3_3_3_2_wgs_99_tpt_99_halfLds_dp_ip_CI_unitstride_sbrr_R2C_dirReg
	.p2align	8
	.type	fft_rtc_fwd_len1782_factors_11_3_3_3_3_2_wgs_99_tpt_99_halfLds_dp_ip_CI_unitstride_sbrr_R2C_dirReg,@function
fft_rtc_fwd_len1782_factors_11_3_3_3_3_2_wgs_99_tpt_99_halfLds_dp_ip_CI_unitstride_sbrr_R2C_dirReg: ; @fft_rtc_fwd_len1782_factors_11_3_3_3_3_2_wgs_99_tpt_99_halfLds_dp_ip_CI_unitstride_sbrr_R2C_dirReg
; %bb.0:
	s_clause 0x2
	s_load_b128 s[4:7], s[0:1], 0x0
	s_load_b64 s[8:9], s[0:1], 0x50
	s_load_b64 s[10:11], s[0:1], 0x18
	v_mul_u32_u24_e32 v1, 0x296, v0
	v_mov_b32_e32 v3, 0
	s_delay_alu instid0(VALU_DEP_2) | instskip(NEXT) | instid1(VALU_DEP_1)
	v_lshrrev_b32_e32 v1, 16, v1
	v_add_nc_u32_e32 v5, ttmp9, v1
	v_mov_b32_e32 v1, 0
	v_mov_b32_e32 v2, 0
	;; [unrolled: 1-line block ×3, first 2 shown]
	s_wait_kmcnt 0x0
	v_cmp_lt_u64_e64 s2, s[6:7], 2
	s_delay_alu instid0(VALU_DEP_1)
	s_and_b32 vcc_lo, exec_lo, s2
	s_cbranch_vccnz .LBB0_8
; %bb.1:
	s_load_b64 s[2:3], s[0:1], 0x10
	v_mov_b32_e32 v1, 0
	v_mov_b32_e32 v2, 0
	s_add_nc_u64 s[12:13], s[10:11], 8
	s_mov_b64 s[14:15], 1
	s_wait_kmcnt 0x0
	s_add_nc_u64 s[16:17], s[2:3], 8
	s_mov_b32 s3, 0
.LBB0_2:                                ; =>This Inner Loop Header: Depth=1
	s_load_b64 s[18:19], s[16:17], 0x0
                                        ; implicit-def: $vgpr7_vgpr8
	s_mov_b32 s2, exec_lo
	s_wait_kmcnt 0x0
	v_or_b32_e32 v4, s19, v6
	s_delay_alu instid0(VALU_DEP_1)
	v_cmpx_ne_u64_e32 0, v[3:4]
	s_wait_alu 0xfffe
	s_xor_b32 s20, exec_lo, s2
	s_cbranch_execz .LBB0_4
; %bb.3:                                ;   in Loop: Header=BB0_2 Depth=1
	s_cvt_f32_u32 s2, s18
	s_cvt_f32_u32 s21, s19
	s_sub_nc_u64 s[24:25], 0, s[18:19]
	s_wait_alu 0xfffe
	s_delay_alu instid0(SALU_CYCLE_1) | instskip(SKIP_1) | instid1(SALU_CYCLE_2)
	s_fmamk_f32 s2, s21, 0x4f800000, s2
	s_wait_alu 0xfffe
	v_s_rcp_f32 s2, s2
	s_delay_alu instid0(TRANS32_DEP_1) | instskip(SKIP_1) | instid1(SALU_CYCLE_2)
	s_mul_f32 s2, s2, 0x5f7ffffc
	s_wait_alu 0xfffe
	s_mul_f32 s21, s2, 0x2f800000
	s_wait_alu 0xfffe
	s_delay_alu instid0(SALU_CYCLE_2) | instskip(SKIP_1) | instid1(SALU_CYCLE_2)
	s_trunc_f32 s21, s21
	s_wait_alu 0xfffe
	s_fmamk_f32 s2, s21, 0xcf800000, s2
	s_cvt_u32_f32 s23, s21
	s_wait_alu 0xfffe
	s_delay_alu instid0(SALU_CYCLE_1) | instskip(SKIP_1) | instid1(SALU_CYCLE_2)
	s_cvt_u32_f32 s22, s2
	s_wait_alu 0xfffe
	s_mul_u64 s[26:27], s[24:25], s[22:23]
	s_wait_alu 0xfffe
	s_mul_hi_u32 s29, s22, s27
	s_mul_i32 s28, s22, s27
	s_mul_hi_u32 s2, s22, s26
	s_mul_i32 s30, s23, s26
	s_wait_alu 0xfffe
	s_add_nc_u64 s[28:29], s[2:3], s[28:29]
	s_mul_hi_u32 s21, s23, s26
	s_mul_hi_u32 s31, s23, s27
	s_add_co_u32 s2, s28, s30
	s_wait_alu 0xfffe
	s_add_co_ci_u32 s2, s29, s21
	s_mul_i32 s26, s23, s27
	s_add_co_ci_u32 s27, s31, 0
	s_wait_alu 0xfffe
	s_add_nc_u64 s[26:27], s[2:3], s[26:27]
	s_wait_alu 0xfffe
	v_add_co_u32 v4, s2, s22, s26
	s_delay_alu instid0(VALU_DEP_1) | instskip(SKIP_1) | instid1(VALU_DEP_1)
	s_cmp_lg_u32 s2, 0
	s_add_co_ci_u32 s23, s23, s27
	v_readfirstlane_b32 s22, v4
	s_wait_alu 0xfffe
	s_delay_alu instid0(VALU_DEP_1)
	s_mul_u64 s[24:25], s[24:25], s[22:23]
	s_wait_alu 0xfffe
	s_mul_hi_u32 s27, s22, s25
	s_mul_i32 s26, s22, s25
	s_mul_hi_u32 s2, s22, s24
	s_mul_i32 s28, s23, s24
	s_wait_alu 0xfffe
	s_add_nc_u64 s[26:27], s[2:3], s[26:27]
	s_mul_hi_u32 s21, s23, s24
	s_mul_hi_u32 s22, s23, s25
	s_wait_alu 0xfffe
	s_add_co_u32 s2, s26, s28
	s_add_co_ci_u32 s2, s27, s21
	s_mul_i32 s24, s23, s25
	s_add_co_ci_u32 s25, s22, 0
	s_wait_alu 0xfffe
	s_add_nc_u64 s[24:25], s[2:3], s[24:25]
	s_wait_alu 0xfffe
	v_add_co_u32 v4, s2, v4, s24
	s_delay_alu instid0(VALU_DEP_1) | instskip(SKIP_1) | instid1(VALU_DEP_1)
	s_cmp_lg_u32 s2, 0
	s_add_co_ci_u32 s2, s23, s25
	v_mul_hi_u32 v13, v5, v4
	s_wait_alu 0xfffe
	v_mad_co_u64_u32 v[7:8], null, v5, s2, 0
	v_mad_co_u64_u32 v[9:10], null, v6, v4, 0
	;; [unrolled: 1-line block ×3, first 2 shown]
	s_delay_alu instid0(VALU_DEP_3) | instskip(SKIP_1) | instid1(VALU_DEP_4)
	v_add_co_u32 v4, vcc_lo, v13, v7
	s_wait_alu 0xfffd
	v_add_co_ci_u32_e32 v7, vcc_lo, 0, v8, vcc_lo
	s_delay_alu instid0(VALU_DEP_2) | instskip(SKIP_1) | instid1(VALU_DEP_2)
	v_add_co_u32 v4, vcc_lo, v4, v9
	s_wait_alu 0xfffd
	v_add_co_ci_u32_e32 v4, vcc_lo, v7, v10, vcc_lo
	s_wait_alu 0xfffd
	v_add_co_ci_u32_e32 v7, vcc_lo, 0, v12, vcc_lo
	s_delay_alu instid0(VALU_DEP_2) | instskip(SKIP_1) | instid1(VALU_DEP_2)
	v_add_co_u32 v4, vcc_lo, v4, v11
	s_wait_alu 0xfffd
	v_add_co_ci_u32_e32 v9, vcc_lo, 0, v7, vcc_lo
	s_delay_alu instid0(VALU_DEP_2) | instskip(SKIP_1) | instid1(VALU_DEP_3)
	v_mul_lo_u32 v10, s19, v4
	v_mad_co_u64_u32 v[7:8], null, s18, v4, 0
	v_mul_lo_u32 v11, s18, v9
	s_delay_alu instid0(VALU_DEP_2) | instskip(NEXT) | instid1(VALU_DEP_2)
	v_sub_co_u32 v7, vcc_lo, v5, v7
	v_add3_u32 v8, v8, v11, v10
	s_delay_alu instid0(VALU_DEP_1) | instskip(SKIP_1) | instid1(VALU_DEP_1)
	v_sub_nc_u32_e32 v10, v6, v8
	s_wait_alu 0xfffd
	v_subrev_co_ci_u32_e64 v10, s2, s19, v10, vcc_lo
	v_add_co_u32 v11, s2, v4, 2
	s_wait_alu 0xf1ff
	v_add_co_ci_u32_e64 v12, s2, 0, v9, s2
	v_sub_co_u32 v13, s2, v7, s18
	v_sub_co_ci_u32_e32 v8, vcc_lo, v6, v8, vcc_lo
	s_wait_alu 0xf1ff
	v_subrev_co_ci_u32_e64 v10, s2, 0, v10, s2
	s_delay_alu instid0(VALU_DEP_3) | instskip(NEXT) | instid1(VALU_DEP_3)
	v_cmp_le_u32_e32 vcc_lo, s18, v13
	v_cmp_eq_u32_e64 s2, s19, v8
	s_wait_alu 0xfffd
	v_cndmask_b32_e64 v13, 0, -1, vcc_lo
	v_cmp_le_u32_e32 vcc_lo, s19, v10
	s_wait_alu 0xfffd
	v_cndmask_b32_e64 v14, 0, -1, vcc_lo
	v_cmp_le_u32_e32 vcc_lo, s18, v7
	;; [unrolled: 3-line block ×3, first 2 shown]
	s_wait_alu 0xfffd
	v_cndmask_b32_e64 v15, 0, -1, vcc_lo
	v_cmp_eq_u32_e32 vcc_lo, s19, v10
	s_wait_alu 0xf1ff
	s_delay_alu instid0(VALU_DEP_2)
	v_cndmask_b32_e64 v7, v15, v7, s2
	s_wait_alu 0xfffd
	v_cndmask_b32_e32 v10, v14, v13, vcc_lo
	v_add_co_u32 v13, vcc_lo, v4, 1
	s_wait_alu 0xfffd
	v_add_co_ci_u32_e32 v14, vcc_lo, 0, v9, vcc_lo
	s_delay_alu instid0(VALU_DEP_3) | instskip(SKIP_2) | instid1(VALU_DEP_3)
	v_cmp_ne_u32_e32 vcc_lo, 0, v10
	s_wait_alu 0xfffd
	v_cndmask_b32_e32 v10, v13, v11, vcc_lo
	v_cndmask_b32_e32 v8, v14, v12, vcc_lo
	v_cmp_ne_u32_e32 vcc_lo, 0, v7
	s_wait_alu 0xfffd
	s_delay_alu instid0(VALU_DEP_2)
	v_dual_cndmask_b32 v7, v4, v10 :: v_dual_cndmask_b32 v8, v9, v8
.LBB0_4:                                ;   in Loop: Header=BB0_2 Depth=1
	s_wait_alu 0xfffe
	s_and_not1_saveexec_b32 s2, s20
	s_cbranch_execz .LBB0_6
; %bb.5:                                ;   in Loop: Header=BB0_2 Depth=1
	v_cvt_f32_u32_e32 v4, s18
	s_sub_co_i32 s20, 0, s18
	s_delay_alu instid0(VALU_DEP_1) | instskip(NEXT) | instid1(TRANS32_DEP_1)
	v_rcp_iflag_f32_e32 v4, v4
	v_mul_f32_e32 v4, 0x4f7ffffe, v4
	s_delay_alu instid0(VALU_DEP_1) | instskip(SKIP_1) | instid1(VALU_DEP_1)
	v_cvt_u32_f32_e32 v4, v4
	s_wait_alu 0xfffe
	v_mul_lo_u32 v7, s20, v4
	s_delay_alu instid0(VALU_DEP_1) | instskip(NEXT) | instid1(VALU_DEP_1)
	v_mul_hi_u32 v7, v4, v7
	v_add_nc_u32_e32 v4, v4, v7
	s_delay_alu instid0(VALU_DEP_1) | instskip(NEXT) | instid1(VALU_DEP_1)
	v_mul_hi_u32 v4, v5, v4
	v_mul_lo_u32 v7, v4, s18
	v_add_nc_u32_e32 v8, 1, v4
	s_delay_alu instid0(VALU_DEP_2) | instskip(NEXT) | instid1(VALU_DEP_1)
	v_sub_nc_u32_e32 v7, v5, v7
	v_subrev_nc_u32_e32 v9, s18, v7
	v_cmp_le_u32_e32 vcc_lo, s18, v7
	s_wait_alu 0xfffd
	s_delay_alu instid0(VALU_DEP_2) | instskip(NEXT) | instid1(VALU_DEP_1)
	v_dual_cndmask_b32 v7, v7, v9 :: v_dual_cndmask_b32 v4, v4, v8
	v_cmp_le_u32_e32 vcc_lo, s18, v7
	s_delay_alu instid0(VALU_DEP_2) | instskip(SKIP_1) | instid1(VALU_DEP_1)
	v_add_nc_u32_e32 v8, 1, v4
	s_wait_alu 0xfffd
	v_dual_cndmask_b32 v7, v4, v8 :: v_dual_mov_b32 v8, v3
.LBB0_6:                                ;   in Loop: Header=BB0_2 Depth=1
	s_wait_alu 0xfffe
	s_or_b32 exec_lo, exec_lo, s2
	s_load_b64 s[20:21], s[12:13], 0x0
	s_delay_alu instid0(VALU_DEP_1)
	v_mul_lo_u32 v4, v8, s18
	v_mul_lo_u32 v11, v7, s19
	v_mad_co_u64_u32 v[9:10], null, v7, s18, 0
	s_add_nc_u64 s[14:15], s[14:15], 1
	s_add_nc_u64 s[12:13], s[12:13], 8
	s_wait_alu 0xfffe
	v_cmp_ge_u64_e64 s2, s[14:15], s[6:7]
	s_add_nc_u64 s[16:17], s[16:17], 8
	s_delay_alu instid0(VALU_DEP_2) | instskip(NEXT) | instid1(VALU_DEP_3)
	v_add3_u32 v4, v10, v11, v4
	v_sub_co_u32 v5, vcc_lo, v5, v9
	s_wait_alu 0xfffd
	s_delay_alu instid0(VALU_DEP_2) | instskip(SKIP_3) | instid1(VALU_DEP_2)
	v_sub_co_ci_u32_e32 v4, vcc_lo, v6, v4, vcc_lo
	s_and_b32 vcc_lo, exec_lo, s2
	s_wait_kmcnt 0x0
	v_mul_lo_u32 v6, s21, v5
	v_mul_lo_u32 v4, s20, v4
	v_mad_co_u64_u32 v[1:2], null, s20, v5, v[1:2]
	s_delay_alu instid0(VALU_DEP_1)
	v_add3_u32 v2, v6, v2, v4
	s_wait_alu 0xfffe
	s_cbranch_vccnz .LBB0_9
; %bb.7:                                ;   in Loop: Header=BB0_2 Depth=1
	v_dual_mov_b32 v5, v7 :: v_dual_mov_b32 v6, v8
	s_branch .LBB0_2
.LBB0_8:
	v_dual_mov_b32 v8, v6 :: v_dual_mov_b32 v7, v5
.LBB0_9:
	s_lshl_b64 s[2:3], s[6:7], 3
	v_mul_hi_u32 v3, 0x295fad5, v0
	s_wait_alu 0xfffe
	s_add_nc_u64 s[2:3], s[10:11], s[2:3]
	s_load_b64 s[2:3], s[2:3], 0x0
	s_load_b64 s[0:1], s[0:1], 0x20
	s_delay_alu instid0(VALU_DEP_1) | instskip(NEXT) | instid1(VALU_DEP_1)
	v_mul_u32_u24_e32 v3, 0x63, v3
	v_sub_nc_u32_e32 v112, v0, v3
	s_delay_alu instid0(VALU_DEP_1)
	v_add_nc_u32_e32 v116, 0x63, v112
	s_wait_kmcnt 0x0
	v_mul_lo_u32 v4, s2, v8
	v_mul_lo_u32 v5, s3, v7
	v_mad_co_u64_u32 v[1:2], null, s2, v7, v[1:2]
	v_cmp_gt_u64_e32 vcc_lo, s[0:1], v[7:8]
	v_cmp_le_u64_e64 s0, s[0:1], v[7:8]
	s_delay_alu instid0(VALU_DEP_3) | instskip(NEXT) | instid1(VALU_DEP_2)
	v_add3_u32 v2, v5, v2, v4
	s_and_saveexec_b32 s1, s0
	s_wait_alu 0xfffe
	s_xor_b32 s0, exec_lo, s1
; %bb.10:
	v_add_nc_u32_e32 v116, 0x63, v112
; %bb.11:
	s_wait_alu 0xfffe
	s_or_saveexec_b32 s1, s0
	v_lshlrev_b64_e32 v[114:115], 4, v[1:2]
	v_lshl_add_u32 v118, v112, 4, 0
	s_wait_alu 0xfffe
	s_xor_b32 exec_lo, exec_lo, s1
	s_cbranch_execz .LBB0_13
; %bb.12:
	v_mov_b32_e32 v113, 0
	v_add_co_u32 v2, s0, s8, v114
	s_wait_alu 0xf1ff
	v_add_co_ci_u32_e64 v3, s0, s9, v115, s0
	s_delay_alu instid0(VALU_DEP_3) | instskip(NEXT) | instid1(VALU_DEP_1)
	v_lshlrev_b64_e32 v[0:1], 4, v[112:113]
	v_add_co_u32 v68, s0, v2, v0
	s_wait_alu 0xf1ff
	s_delay_alu instid0(VALU_DEP_2)
	v_add_co_ci_u32_e64 v69, s0, v3, v1, s0
	s_clause 0x11
	global_load_b128 v[0:3], v[68:69], off
	global_load_b128 v[4:7], v[68:69], off offset:1584
	global_load_b128 v[8:11], v[68:69], off offset:3168
	;; [unrolled: 1-line block ×17, first 2 shown]
	s_wait_loadcnt 0x11
	ds_store_b128 v118, v[0:3]
	s_wait_loadcnt 0x10
	ds_store_b128 v118, v[4:7] offset:1584
	s_wait_loadcnt 0xf
	ds_store_b128 v118, v[8:11] offset:3168
	;; [unrolled: 2-line block ×17, first 2 shown]
.LBB0_13:
	s_or_b32 exec_lo, exec_lo, s1
	global_wb scope:SCOPE_SE
	s_wait_dscnt 0x0
	s_barrier_signal -1
	s_barrier_wait -1
	global_inv scope:SCOPE_SE
	ds_load_b128 v[56:59], v118 offset:2592
	ds_load_b128 v[44:47], v118
	ds_load_b128 v[0:3], v118 offset:1584
	ds_load_b128 v[32:35], v118 offset:4176
	;; [unrolled: 1-line block ×9, first 2 shown]
	s_mov_b32 s2, 0xf8bb580b
	s_mov_b32 s14, 0x8eee2c13
	;; [unrolled: 1-line block ×14, first 2 shown]
	s_wait_dscnt 0x9
	v_add_f64_e32 v[4:5], v[44:45], v[56:57]
	v_add_f64_e32 v[6:7], v[46:47], v[58:59]
	s_mov_b32 s18, 0x9bcd5057
	s_mov_b32 s13, 0x3feaeb8c
	s_wait_dscnt 0x1
	v_add_f64_e64 v[92:93], v[58:59], -v[50:51]
	v_add_f64_e64 v[94:95], v[56:57], -v[48:49]
	v_add_f64_e32 v[56:57], v[56:57], v[48:49]
	v_add_f64_e32 v[58:59], v[58:59], v[50:51]
	s_mov_b32 s17, 0x3fda9628
	s_mov_b32 s25, 0xbfc2375f
	;; [unrolled: 1-line block ×7, first 2 shown]
	s_wait_alu 0xfffe
	s_mov_b32 s26, s6
	s_mov_b32 s30, s20
	;; [unrolled: 1-line block ×5, first 2 shown]
	s_mov_b32 s33, exec_lo
	v_add_f64_e32 v[4:5], v[4:5], v[60:61]
	v_add_f64_e32 v[6:7], v[6:7], v[62:63]
	v_mul_f64_e32 v[100:101], s[2:3], v[92:93]
	v_mul_f64_e32 v[102:103], s[2:3], v[94:95]
	;; [unrolled: 1-line block ×10, first 2 shown]
	v_add_f64_e32 v[4:5], v[4:5], v[64:65]
	v_add_f64_e32 v[6:7], v[6:7], v[66:67]
	v_fma_f64 v[139:140], v[56:57], s[12:13], -v[100:101]
	v_fma_f64 v[141:142], v[58:59], s[12:13], v[102:103]
	v_fma_f64 v[100:101], v[56:57], s[12:13], v[100:101]
	v_fma_f64 v[102:103], v[58:59], s[12:13], -v[102:103]
	v_fma_f64 v[143:144], v[56:57], s[16:17], -v[104:105]
	v_fma_f64 v[145:146], v[58:59], s[16:17], v[106:107]
	v_fma_f64 v[104:105], v[56:57], s[16:17], v[104:105]
	v_fma_f64 v[106:107], v[58:59], s[16:17], -v[106:107]
	v_fma_f64 v[147:148], v[56:57], s[24:25], -v[108:109]
	v_fma_f64 v[149:150], v[58:59], s[24:25], v[110:111]
	v_fma_f64 v[108:109], v[56:57], s[24:25], v[108:109]
	v_fma_f64 v[110:111], v[58:59], s[24:25], -v[110:111]
	v_fma_f64 v[151:152], v[56:57], s[22:23], -v[119:120]
	v_fma_f64 v[153:154], v[58:59], s[22:23], v[121:122]
	v_fma_f64 v[119:120], v[56:57], s[22:23], v[119:120]
	v_fma_f64 v[121:122], v[58:59], s[22:23], -v[121:122]
	v_fma_f64 v[155:156], v[56:57], s[18:19], -v[92:93]
	v_fma_f64 v[157:158], v[58:59], s[18:19], v[94:95]
	v_fma_f64 v[56:57], v[56:57], s[18:19], v[92:93]
	v_fma_f64 v[58:59], v[58:59], s[18:19], -v[94:95]
	v_add_f64_e32 v[88:89], v[4:5], v[68:69]
	v_add_f64_e32 v[90:91], v[6:7], v[70:71]
	ds_load_b128 v[4:7], v118 offset:27504
	ds_load_b128 v[72:75], v118 offset:12960
	ds_load_b128 v[24:27], v118 offset:14544
	ds_load_b128 v[76:79], v118 offset:15552
	ds_load_b128 v[20:23], v118 offset:17136
	ds_load_b128 v[52:55], v118 offset:23328
	ds_load_b128 v[80:83], v118 offset:18144
	ds_load_b128 v[16:19], v118 offset:19728
	ds_load_b128 v[84:87], v118 offset:20736
	ds_load_b128 v[12:15], v118 offset:22320
	ds_load_b128 v[8:11], v118 offset:24912
	v_add_f64_e32 v[139:140], v[44:45], v[139:140]
	v_add_f64_e32 v[141:142], v[46:47], v[141:142]
	v_add_f64_e32 v[100:101], v[44:45], v[100:101]
	v_add_f64_e32 v[102:103], v[46:47], v[102:103]
	v_add_f64_e32 v[143:144], v[44:45], v[143:144]
	v_add_f64_e32 v[145:146], v[46:47], v[145:146]
	v_add_f64_e32 v[104:105], v[44:45], v[104:105]
	v_add_f64_e32 v[106:107], v[46:47], v[106:107]
	v_add_f64_e32 v[147:148], v[44:45], v[147:148]
	v_add_f64_e32 v[149:150], v[46:47], v[149:150]
	v_add_f64_e32 v[108:109], v[44:45], v[108:109]
	v_add_f64_e32 v[110:111], v[46:47], v[110:111]
	s_wait_dscnt 0x7
	v_add_f64_e32 v[94:95], v[72:73], v[76:77]
	v_add_f64_e32 v[159:160], v[74:75], v[78:79]
	s_wait_dscnt 0x5
	v_add_f64_e64 v[96:97], v[62:63], -v[54:55]
	v_add_f64_e64 v[98:99], v[60:61], -v[52:53]
	s_wait_dscnt 0x4
	v_add_f64_e32 v[127:128], v[68:69], v[80:81]
	s_wait_dscnt 0x2
	v_add_f64_e32 v[125:126], v[66:67], v[86:87]
	v_add_f64_e64 v[66:67], v[66:67], -v[86:87]
	v_add_f64_e32 v[129:130], v[70:71], v[82:83]
	v_add_f64_e32 v[60:61], v[60:61], v[52:53]
	;; [unrolled: 1-line block ×3, first 2 shown]
	v_add_f64_e64 v[68:69], v[68:69], -v[80:81]
	v_add_f64_e64 v[70:71], v[70:71], -v[82:83]
	v_add_f64_e32 v[123:124], v[64:65], v[84:85]
	v_add_f64_e64 v[64:65], v[64:65], -v[84:85]
	v_add_f64_e32 v[151:152], v[44:45], v[151:152]
	v_add_f64_e32 v[153:154], v[46:47], v[153:154]
	;; [unrolled: 1-line block ×10, first 2 shown]
	v_add_f64_e64 v[72:73], v[72:73], -v[76:77]
	v_add_f64_e64 v[74:75], v[74:75], -v[78:79]
	global_wb scope:SCOPE_SE
	s_wait_dscnt 0x0
	s_barrier_signal -1
	s_barrier_wait -1
	global_inv scope:SCOPE_SE
	v_mul_f64_e32 v[131:132], s[14:15], v[96:97]
	v_mul_f64_e32 v[133:134], s[10:11], v[96:97]
	;; [unrolled: 1-line block ×3, first 2 shown]
	s_wait_alu 0xfffe
	v_mul_f64_e32 v[137:138], s[26:27], v[96:97]
	v_mul_f64_e32 v[92:93], s[26:27], v[98:99]
	;; [unrolled: 1-line block ×15, first 2 shown]
	v_add_f64_e32 v[88:89], v[88:89], v[76:77]
	v_add_f64_e32 v[90:91], v[90:91], v[78:79]
	v_mul_f64_e32 v[76:77], s[28:29], v[96:97]
	v_mul_f64_e32 v[78:79], s[14:15], v[98:99]
	v_fma_f64 v[96:97], v[60:61], s[16:17], -v[131:132]
	v_fma_f64 v[163:164], v[62:63], s[22:23], v[135:136]
	v_fma_f64 v[135:136], v[62:63], s[22:23], -v[135:136]
	v_fma_f64 v[165:166], v[60:61], s[18:19], -v[137:138]
	v_fma_f64 v[56:57], v[62:63], s[18:19], v[92:93]
	v_fma_f64 v[58:59], v[60:61], s[18:19], v[137:138]
	v_fma_f64 v[92:93], v[62:63], s[18:19], -v[92:93]
	v_fma_f64 v[137:138], v[60:61], s[24:25], -v[161:162]
	;; [unrolled: 1-line block ×3, first 2 shown]
	v_fma_f64 v[169:170], v[123:124], s[16:17], v[169:170]
	v_fma_f64 v[179:180], v[123:124], s[12:13], -v[171:172]
	v_fma_f64 v[171:172], v[123:124], s[12:13], v[171:172]
	v_fma_f64 v[181:182], v[123:124], s[22:23], -v[173:174]
	v_fma_f64 v[173:174], v[123:124], s[22:23], v[173:174]
	v_fma_f64 v[193:194], v[125:126], s[16:17], v[185:186]
	v_fma_f64 v[185:186], v[125:126], s[16:17], -v[185:186]
	v_fma_f64 v[195:196], v[125:126], s[12:13], v[187:188]
	v_fma_f64 v[187:188], v[125:126], s[12:13], -v[187:188]
	v_fma_f64 v[197:198], v[125:126], s[22:23], v[189:190]
	v_add_f64_e32 v[80:81], v[88:89], v[80:81]
	v_add_f64_e32 v[82:83], v[90:91], v[82:83]
	v_mul_f64_e32 v[88:89], s[30:31], v[98:99]
	v_mul_f64_e32 v[90:91], s[28:29], v[98:99]
	v_fma_f64 v[98:99], v[60:61], s[22:23], -v[133:134]
	v_fma_f64 v[133:134], v[60:61], s[22:23], v[133:134]
	v_fma_f64 v[167:168], v[62:63], s[16:17], v[78:79]
	v_fma_f64 v[189:190], v[125:126], s[22:23], -v[189:190]
	v_fma_f64 v[209:210], v[127:128], s[12:13], -v[201:202]
	v_fma_f64 v[201:202], v[127:128], s[12:13], v[201:202]
	v_fma_f64 v[211:212], v[127:128], s[18:19], -v[203:204]
	v_fma_f64 v[203:204], v[127:128], s[18:19], v[203:204]
	;; [unrolled: 2-line block ×3, first 2 shown]
	v_fma_f64 v[225:226], v[129:130], s[12:13], v[217:218]
	v_fma_f64 v[217:218], v[129:130], s[12:13], -v[217:218]
	v_fma_f64 v[227:228], v[129:130], s[18:19], v[219:220]
	v_fma_f64 v[219:220], v[129:130], s[18:19], -v[219:220]
	;; [unrolled: 2-line block ×3, first 2 shown]
	v_add_f64_e32 v[96:97], v[96:97], v[139:140]
	v_add_f64_e32 v[139:140], v[163:164], v[145:146]
	;; [unrolled: 1-line block ×9, first 2 shown]
	v_fma_f64 v[84:85], v[62:63], s[24:25], v[88:89]
	v_fma_f64 v[86:87], v[60:61], s[24:25], v[161:162]
	v_fma_f64 v[88:89], v[62:63], s[24:25], -v[88:89]
	v_fma_f64 v[161:162], v[60:61], s[12:13], -v[76:77]
	v_fma_f64 v[76:77], v[60:61], s[12:13], v[76:77]
	v_fma_f64 v[60:61], v[60:61], s[16:17], v[131:132]
	;; [unrolled: 1-line block ×3, first 2 shown]
	v_fma_f64 v[90:91], v[62:63], s[12:13], -v[90:91]
	v_fma_f64 v[62:63], v[62:63], s[16:17], -v[78:79]
	v_mul_f64_e32 v[78:79], s[26:27], v[66:67]
	v_mul_f64_e32 v[66:67], s[20:21], v[66:67]
	v_add_f64_e32 v[98:99], v[98:99], v[143:144]
	v_add_f64_e32 v[104:105], v[133:134], v[104:105]
	;; [unrolled: 1-line block ×13, first 2 shown]
	v_mul_f64_e32 v[76:77], s[28:29], v[74:75]
	v_add_f64_e32 v[46:47], v[90:91], v[46:47]
	v_add_f64_e32 v[62:63], v[62:63], v[102:103]
	v_fma_f64 v[175:176], v[123:124], s[18:19], -v[78:79]
	v_fma_f64 v[78:79], v[123:124], s[18:19], v[78:79]
	v_fma_f64 v[183:184], v[123:124], s[24:25], -v[66:67]
	v_fma_f64 v[66:67], v[123:124], s[24:25], v[66:67]
	v_mul_f64_e32 v[123:124], s[26:27], v[64:65]
	v_mul_f64_e32 v[64:65], s[20:21], v[64:65]
	;; [unrolled: 1-line block ×6, first 2 shown]
	v_add_f64_e32 v[119:120], v[131:132], v[157:158]
	v_add_f64_e32 v[155:156], v[80:81], v[52:53]
	;; [unrolled: 1-line block ×10, first 2 shown]
	v_fma_f64 v[121:122], v[94:95], s[12:13], -v[76:77]
	v_fma_f64 v[76:77], v[94:95], s[12:13], v[76:77]
	v_add_f64_e32 v[46:47], v[189:190], v[46:47]
	v_add_f64_e32 v[98:99], v[175:176], v[98:99]
	v_add_f64_e32 v[78:79], v[78:79], v[104:105]
	v_add_f64_e32 v[60:61], v[66:67], v[60:61]
	v_fma_f64 v[191:192], v[125:126], s[18:19], v[123:124]
	v_fma_f64 v[123:124], v[125:126], s[18:19], -v[123:124]
	v_fma_f64 v[199:200], v[125:126], s[24:25], v[64:65]
	v_fma_f64 v[64:65], v[125:126], s[24:25], -v[64:65]
	v_mul_f64_e32 v[125:126], s[30:31], v[70:71]
	v_mul_f64_e32 v[70:71], s[10:11], v[70:71]
	v_fma_f64 v[131:132], v[94:95], s[22:23], -v[90:91]
	v_fma_f64 v[90:91], v[94:95], s[22:23], v[90:91]
	v_fma_f64 v[135:136], v[94:95], s[16:17], -v[100:101]
	v_fma_f64 v[100:101], v[94:95], s[16:17], v[100:101]
	;; [unrolled: 2-line block ×3, first 2 shown]
	v_mul_f64_e32 v[66:67], s[10:11], v[72:73]
	v_add_f64_e32 v[119:120], v[197:198], v[119:120]
	v_add_f64_e32 v[48:49], v[155:156], v[48:49]
	;; [unrolled: 1-line block ×11, first 2 shown]
	v_fma_f64 v[207:208], v[127:128], s[24:25], -v[125:126]
	v_fma_f64 v[125:126], v[127:128], s[24:25], v[125:126]
	v_fma_f64 v[215:216], v[127:128], s[22:23], -v[70:71]
	v_fma_f64 v[70:71], v[127:128], s[22:23], v[70:71]
	v_mul_f64_e32 v[127:128], s[30:31], v[68:69]
	v_mul_f64_e32 v[68:69], s[10:11], v[68:69]
	;; [unrolled: 1-line block ×6, first 2 shown]
	v_fma_f64 v[143:144], v[159:160], s[22:23], v[66:67]
	v_fma_f64 v[145:146], v[159:160], s[22:23], -v[66:67]
	v_add_f64_e32 v[119:120], v[229:230], v[119:120]
	v_add_f64_e32 v[106:107], v[209:210], v[106:107]
	;; [unrolled: 1-line block ×4, first 2 shown]
	v_fma_f64 v[223:224], v[129:130], s[24:25], v[127:128]
	v_fma_f64 v[127:128], v[129:130], s[24:25], -v[127:128]
	v_fma_f64 v[231:232], v[129:130], s[22:23], v[68:69]
	v_fma_f64 v[68:69], v[129:130], s[22:23], -v[68:69]
	v_add_f64_e32 v[129:130], v[167:168], v[141:142]
	v_fma_f64 v[141:142], v[94:95], s[18:19], -v[74:75]
	v_fma_f64 v[94:95], v[94:95], s[18:19], v[74:75]
	v_add_f64_e32 v[74:75], v[183:184], v[96:97]
	v_fma_f64 v[66:67], v[159:160], s[18:19], v[72:73]
	v_fma_f64 v[151:152], v[159:160], s[18:19], -v[72:73]
	v_fma_f64 v[147:148], v[159:160], s[16:17], v[123:124]
	v_fma_f64 v[149:150], v[159:160], s[24:25], v[133:134]
	v_fma_f64 v[133:134], v[159:160], s[24:25], -v[133:134]
	v_fma_f64 v[123:124], v[159:160], s[16:17], -v[123:124]
	v_add_f64_e32 v[56:57], v[76:77], v[78:79]
	v_add_f64_e32 v[77:78], v[137:138], v[110:111]
	;; [unrolled: 1-line block ×7, first 2 shown]
	v_fma_f64 v[139:140], v[159:160], s[12:13], v[64:65]
	v_add_f64_e32 v[72:73], v[215:216], v[74:75]
	v_fma_f64 v[64:65], v[159:160], s[12:13], -v[64:65]
	v_add_f64_e32 v[159:160], v[70:71], v[60:61]
	v_add_f64_e32 v[60:61], v[131:132], v[106:107]
	;; [unrolled: 1-line block ×13, first 2 shown]
	v_mad_u32_u24 v64, 0xa0, v112, v118
	v_add_f64_e32 v[46:47], v[66:67], v[74:75]
	v_add_f64_e32 v[52:53], v[121:122], v[96:97]
	;; [unrolled: 1-line block ×10, first 2 shown]
	ds_store_b128 v64, v[52:55] offset:32
	ds_store_b128 v64, v[60:63] offset:48
	;; [unrolled: 1-line block ×8, first 2 shown]
	ds_store_b128 v64, v[48:51]
	ds_store_b128 v64, v[44:47] offset:16
	ds_store_b128 v64, v[85:88] offset:160
	v_cmpx_gt_u32_e32 63, v112
	s_cbranch_execz .LBB0_15
; %bb.14:
	v_add_f64_e32 v[44:45], v[2:3], v[34:35]
	v_add_f64_e32 v[46:47], v[0:1], v[32:33]
	;; [unrolled: 1-line block ×3, first 2 shown]
	v_add_f64_e64 v[56:57], v[42:43], -v[10:11]
	v_add_f64_e32 v[52:53], v[34:35], v[6:7]
	v_add_f64_e64 v[58:59], v[34:35], -v[6:7]
	v_add_f64_e32 v[48:49], v[30:31], v[14:15]
	v_add_f64_e64 v[54:55], v[30:31], -v[14:15]
	v_add_f64_e64 v[65:66], v[28:29], -v[12:13]
	v_add_f64_e32 v[71:72], v[28:29], v[12:13]
	v_add_f64_e64 v[69:70], v[32:33], -v[4:5]
	v_add_f64_e32 v[32:33], v[32:33], v[4:5]
	s_mov_b32 s1, 0x3fe82f19
	s_mov_b32 s0, s10
	v_add_f64_e64 v[67:68], v[40:41], -v[8:9]
	v_add_f64_e64 v[77:78], v[26:27], -v[22:23]
	v_add_f64_e32 v[62:63], v[26:27], v[22:23]
	v_add_f64_e64 v[34:35], v[24:25], -v[20:21]
	v_add_f64_e32 v[75:76], v[24:25], v[20:21]
	v_add_f64_e64 v[60:61], v[38:39], -v[18:19]
	v_add_f64_e64 v[73:74], v[36:37], -v[16:17]
	v_add_f64_e32 v[79:80], v[36:37], v[16:17]
	v_add_f64_e32 v[42:43], v[44:45], v[42:43]
	;; [unrolled: 1-line block ×4, first 2 shown]
	v_mul_f64_e32 v[83:84], s[12:13], v[50:51]
	v_mul_f64_e32 v[85:86], s[18:19], v[52:53]
	;; [unrolled: 1-line block ×18, first 2 shown]
	v_add_f64_e32 v[46:47], v[38:39], v[18:19]
	v_mul_f64_e32 v[93:94], s[12:13], v[48:49]
	v_mul_f64_e32 v[101:102], s[2:3], v[54:55]
	;; [unrolled: 1-line block ×16, first 2 shown]
	v_add_f64_e32 v[30:31], v[42:43], v[30:31]
	v_add_f64_e32 v[28:29], v[44:45], v[28:29]
	v_mul_f64_e32 v[42:43], s[30:31], v[56:57]
	v_mul_f64_e32 v[56:57], s[14:15], v[56:57]
	v_fma_f64 v[165:166], v[69:70], s[26:27], v[85:86]
	v_fma_f64 v[171:172], v[32:33], s[18:19], v[91:92]
	;; [unrolled: 1-line block ×3, first 2 shown]
	v_fma_f64 v[91:92], v[32:33], s[18:19], -v[91:92]
	s_wait_alu 0xfffe
	v_fma_f64 v[175:176], v[69:70], s[0:1], v[95:96]
	v_fma_f64 v[177:178], v[32:33], s[22:23], v[97:98]
	v_fma_f64 v[95:96], v[69:70], s[10:11], v[95:96]
	v_fma_f64 v[97:98], v[32:33], s[22:23], -v[97:98]
	v_fma_f64 v[179:180], v[69:70], s[30:31], v[103:104]
	v_fma_f64 v[103:104], v[69:70], s[20:21], v[103:104]
	v_fma_f64 v[183:184], v[69:70], s[34:35], v[107:108]
	v_fma_f64 v[185:186], v[32:33], s[16:17], v[109:110]
	v_fma_f64 v[107:108], v[69:70], s[14:15], v[107:108]
	v_fma_f64 v[109:110], v[32:33], s[16:17], -v[109:110]
	v_fma_f64 v[181:182], v[32:33], s[24:25], v[105:106]
	v_fma_f64 v[105:106], v[32:33], s[24:25], -v[105:106]
	v_fma_f64 v[187:188], v[69:70], s[28:29], v[52:53]
	v_fma_f64 v[189:190], v[32:33], s[12:13], v[58:59]
	;; [unrolled: 1-line block ×3, first 2 shown]
	v_fma_f64 v[32:33], v[32:33], s[12:13], -v[58:59]
	v_mul_f64_e32 v[44:45], s[16:17], v[48:49]
	v_fma_f64 v[169:170], v[40:41], s[12:13], v[89:90]
	v_fma_f64 v[89:90], v[40:41], s[12:13], -v[89:90]
	v_fma_f64 v[58:59], v[67:68], s[20:21], v[99:100]
	v_fma_f64 v[99:100], v[67:68], s[30:31], v[99:100]
	v_fma_f64 v[195:196], v[40:41], s[18:19], v[123:124]
	v_fma_f64 v[123:124], v[40:41], s[18:19], -v[123:124]
	v_fma_f64 v[197:198], v[67:68], s[0:1], v[127:128]
	v_fma_f64 v[199:200], v[40:41], s[22:23], v[131:132]
	;; [unrolled: 4-line block ×3, first 2 shown]
	v_mul_f64_e32 v[48:49], s[24:25], v[48:49]
	v_add_f64_e32 v[30:31], v[30:31], v[38:39]
	v_add_f64_e32 v[28:29], v[28:29], v[36:37]
	v_mul_f64_e32 v[36:37], s[6:7], v[77:78]
	v_fma_f64 v[77:78], v[67:68], s[2:3], v[83:84]
	v_fma_f64 v[83:84], v[67:68], s[28:29], v[83:84]
	v_fma_f64 v[191:192], v[40:41], s[24:25], v[42:43]
	v_add_f64_e32 v[85:86], v[2:3], v[85:86]
	v_add_f64_e32 v[91:92], v[0:1], v[91:92]
	v_mul_f64_e32 v[137:138], s[18:19], v[46:47]
	v_mul_f64_e32 v[141:142], s[12:13], v[46:47]
	v_add_f64_e32 v[95:96], v[2:3], v[95:96]
	v_add_f64_e32 v[97:98], v[0:1], v[97:98]
	v_mul_f64_e32 v[145:146], s[24:25], v[46:47]
	v_add_f64_e32 v[103:104], v[2:3], v[103:104]
	v_fma_f64 v[173:174], v[65:66], s[28:29], v[93:94]
	v_fma_f64 v[69:70], v[71:72], s[12:13], v[101:102]
	v_add_f64_e32 v[107:108], v[2:3], v[107:108]
	v_add_f64_e32 v[109:110], v[0:1], v[109:110]
	v_fma_f64 v[101:102], v[71:72], s[12:13], -v[101:102]
	v_add_f64_e32 v[105:106], v[0:1], v[105:106]
	v_fma_f64 v[38:39], v[65:66], s[0:1], v[81:82]
	v_fma_f64 v[167:168], v[71:72], s[22:23], v[87:88]
	;; [unrolled: 1-line block ×3, first 2 shown]
	v_add_f64_e32 v[32:33], v[0:1], v[32:33]
	v_fma_f64 v[87:88], v[71:72], s[22:23], -v[87:88]
	v_fma_f64 v[193:194], v[71:72], s[16:17], v[121:122]
	v_fma_f64 v[121:122], v[71:72], s[16:17], -v[121:122]
	v_fma_f64 v[93:94], v[65:66], s[2:3], v[93:94]
	v_mul_f64_e32 v[133:134], s[16:17], v[46:47]
	v_mul_f64_e32 v[46:47], s[22:23], v[46:47]
	;; [unrolled: 1-line block ×6, first 2 shown]
	v_fma_f64 v[203:204], v[79:80], s[18:19], v[139:140]
	v_fma_f64 v[139:140], v[79:80], s[18:19], -v[139:140]
	v_mul_f64_e32 v[149:150], s[24:25], v[62:63]
	v_mul_f64_e32 v[62:63], s[18:19], v[62:63]
	v_add_f64_e32 v[26:27], v[30:31], v[26:27]
	v_add_f64_e32 v[24:25], v[28:29], v[24:25]
	v_fma_f64 v[28:29], v[40:41], s[24:25], -v[42:43]
	v_fma_f64 v[42:43], v[67:68], s[6:7], v[119:120]
	v_fma_f64 v[119:120], v[67:68], s[26:27], v[119:120]
	v_fma_f64 v[67:68], v[40:41], s[16:17], v[56:57]
	v_fma_f64 v[40:41], v[40:41], s[16:17], -v[56:57]
	v_add_f64_e32 v[56:57], v[2:3], v[165:166]
	v_add_f64_e32 v[165:166], v[0:1], v[171:172]
	;; [unrolled: 1-line block ×11, first 2 shown]
	v_fma_f64 v[30:31], v[65:66], s[14:15], v[44:45]
	v_fma_f64 v[44:45], v[65:66], s[34:35], v[44:45]
	;; [unrolled: 1-line block ×3, first 2 shown]
	v_add_f64_e32 v[83:84], v[83:84], v[85:86]
	v_add_f64_e32 v[85:86], v[89:90], v[91:92]
	;; [unrolled: 1-line block ×4, first 2 shown]
	v_fma_f64 v[189:190], v[73:74], s[26:27], v[137:138]
	v_fma_f64 v[131:132], v[79:80], s[24:25], -v[147:148]
	v_fma_f64 v[137:138], v[73:74], s[6:7], v[137:138]
	v_fma_f64 v[187:188], v[79:80], s[16:17], v[135:136]
	v_fma_f64 v[135:136], v[79:80], s[16:17], -v[135:136]
	v_add_f64_e32 v[22:23], v[26:27], v[22:23]
	v_add_f64_e32 v[20:21], v[24:25], v[20:21]
	v_fma_f64 v[24:25], v[65:66], s[6:7], v[125:126]
	v_fma_f64 v[125:126], v[71:72], s[18:19], -v[129:130]
	v_add_f64_e32 v[28:29], v[28:29], v[97:98]
	v_add_f64_e32 v[95:96], v[119:120], v[103:104]
	;; [unrolled: 1-line block ×10, first 2 shown]
	v_fma_f64 v[26:27], v[71:72], s[18:19], v[129:130]
	v_add_f64_e32 v[107:108], v[197:198], v[181:182]
	v_add_f64_e32 v[109:110], v[199:200], v[183:184]
	v_fma_f64 v[129:130], v[65:66], s[30:31], v[48:49]
	v_fma_f64 v[48:49], v[65:66], s[20:21], v[48:49]
	;; [unrolled: 1-line block ×3, first 2 shown]
	v_fma_f64 v[54:55], v[71:72], s[24:25], -v[54:55]
	v_add_f64_e32 v[2:3], v[50:51], v[2:3]
	v_add_f64_e32 v[32:33], v[40:41], v[32:33]
	;; [unrolled: 1-line block ×4, first 2 shown]
	v_fma_f64 v[40:41], v[73:74], s[2:3], v[141:142]
	v_fma_f64 v[127:128], v[73:74], s[30:31], v[145:146]
	v_fma_f64 v[50:51], v[79:80], s[12:13], -v[143:144]
	v_fma_f64 v[71:72], v[73:74], s[14:15], v[133:134]
	v_fma_f64 v[133:134], v[73:74], s[34:35], v[133:134]
	;; [unrolled: 1-line block ×4, first 2 shown]
	v_fma_f64 v[147:148], v[75:76], s[24:25], -v[151:152]
	v_fma_f64 v[145:146], v[34:35], s[20:21], v[149:150]
	v_add_f64_e32 v[18:19], v[22:23], v[18:19]
	v_add_f64_e32 v[16:17], v[20:21], v[16:17]
	v_fma_f64 v[20:21], v[73:74], s[28:29], v[141:142]
	v_fma_f64 v[22:23], v[79:80], s[12:13], v[143:144]
	v_add_f64_e32 v[28:29], v[101:102], v[28:29]
	v_fma_f64 v[141:142], v[73:74], s[0:1], v[46:47]
	v_fma_f64 v[46:47], v[73:74], s[10:11], v[46:47]
	v_add_f64_e32 v[38:39], v[38:39], v[56:57]
	v_add_f64_e32 v[56:57], v[167:168], v[77:78]
	;; [unrolled: 1-line block ×15, first 2 shown]
	v_fma_f64 v[73:74], v[79:80], s[22:23], v[60:61]
	v_fma_f64 v[60:61], v[79:80], s[22:23], -v[60:61]
	v_add_f64_e32 v[2:3], v[48:49], v[2:3]
	v_add_f64_e32 v[32:33], v[54:55], v[32:33]
	;; [unrolled: 1-line block ×4, first 2 shown]
	v_fma_f64 v[54:55], v[75:76], s[16:17], -v[155:156]
	v_fma_f64 v[93:94], v[34:35], s[10:11], v[157:158]
	v_fma_f64 v[101:102], v[34:35], s[28:29], v[161:162]
	v_fma_f64 v[103:104], v[75:76], s[12:13], -v[163:164]
	v_fma_f64 v[95:96], v[75:76], s[22:23], -v[159:160]
	v_fma_f64 v[143:144], v[75:76], s[24:25], v[151:152]
	v_fma_f64 v[48:49], v[34:35], s[34:35], v[153:154]
	;; [unrolled: 1-line block ×5, first 2 shown]
	v_add_f64_e32 v[14:15], v[18:19], v[14:15]
	v_add_f64_e32 v[12:13], v[16:17], v[12:13]
	v_fma_f64 v[16:17], v[34:35], s[14:15], v[153:154]
	v_fma_f64 v[18:19], v[75:76], s[16:17], v[155:156]
	v_add_f64_e32 v[28:29], v[139:140], v[28:29]
	v_fma_f64 v[36:37], v[75:76], s[18:19], -v[36:37]
	v_fma_f64 v[79:80], v[34:35], s[30:31], v[149:150]
	v_fma_f64 v[65:66], v[34:35], s[0:1], v[157:158]
	;; [unrolled: 1-line block ×3, first 2 shown]
	v_add_f64_e32 v[58:59], v[189:190], v[58:59]
	v_fma_f64 v[105:106], v[34:35], s[26:27], v[62:63]
	v_add_f64_e32 v[20:21], v[20:21], v[30:31]
	v_add_f64_e32 v[30:31], v[40:41], v[42:43]
	;; [unrolled: 1-line block ×4, first 2 shown]
	v_fma_f64 v[62:63], v[34:35], s[6:7], v[62:63]
	v_add_f64_e32 v[44:45], v[50:51], v[85:86]
	v_add_f64_e32 v[69:70], v[203:204], v[69:70]
	v_add_f64_e32 v[75:76], v[137:138], v[83:84]
	v_add_f64_e32 v[34:35], v[71:72], v[38:39]
	v_add_f64_e32 v[38:39], v[187:188], v[56:57]
	v_add_f64_e32 v[56:57], v[133:134], v[77:78]
	v_add_f64_e32 v[71:72], v[135:136], v[81:82]
	v_add_f64_e32 v[50:51], v[22:23], v[87:88]
	v_add_f64_e32 v[52:53], v[67:68], v[24:25]
	v_add_f64_e32 v[67:68], v[123:124], v[26:27]
	v_add_f64_e32 v[46:47], v[46:47], v[2:3]
	v_add_f64_e32 v[60:61], v[60:61], v[32:33]
	v_add_f64_e32 v[77:78], v[141:142], v[89:90]
	v_add_f64_e32 v[73:74], v[73:74], v[0:1]
	v_add_f64_e32 v[81:82], v[14:15], v[10:11]
	v_add_f64_e32 v[83:84], v[12:13], v[8:9]
	v_add_f64_e32 v[14:15], v[16:17], v[58:59]
	v_add_f64_e32 v[16:17], v[54:55], v[28:29]
	v_add_f64_e32 v[22:23], v[65:66], v[20:21]
	v_add_f64_e32 v[26:27], v[93:94], v[30:31]
	v_add_f64_e32 v[30:31], v[101:102], v[40:41]
	v_add_f64_e32 v[28:29], v[103:104], v[42:43]
	v_add_f64_e32 v[24:25], v[95:96], v[44:45]
	v_add_f64_e32 v[12:13], v[18:19], v[69:70]
	v_add_f64_e32 v[18:19], v[48:49], v[75:76]
	v_add_f64_e32 v[2:3], v[79:80], v[34:35]
	v_add_f64_e32 v[0:1], v[143:144], v[38:39]
	v_add_f64_e32 v[10:11], v[145:146], v[56:57]
	v_add_f64_e32 v[8:9], v[147:148], v[71:72]
	v_add_f64_e32 v[20:21], v[91:92], v[50:51]
	v_add_f64_e32 v[34:35], v[97:98], v[52:53]
	v_add_f64_e32 v[32:33], v[99:100], v[67:68]
	v_add_f64_e32 v[42:43], v[62:63], v[46:47]
	v_add_f64_e32 v[40:41], v[36:37], v[60:61]
	v_add_f64_e32 v[38:39], v[105:106], v[77:78]
	v_add_f64_e32 v[36:37], v[107:108], v[73:74]
	v_mad_i32_i24 v44, 0xb0, v116, 0
	v_add_f64_e32 v[6:7], v[81:82], v[6:7]
	v_add_f64_e32 v[4:5], v[83:84], v[4:5]
	ds_store_b128 v44, v[28:31] offset:32
	ds_store_b128 v44, v[24:27] offset:48
	;; [unrolled: 1-line block ×9, first 2 shown]
	ds_store_b128 v44, v[4:7]
	ds_store_b128 v44, v[36:39] offset:160
.LBB0_15:
	s_or_b32 exec_lo, exec_lo, s33
	v_and_b32_e32 v135, 0xff, v112
	v_and_b32_e32 v136, 0xff, v116
	v_add_nc_u32_e32 v113, 0xc6, v112
	v_add_nc_u32_e32 v122, 0x129, v112
	;; [unrolled: 1-line block ×3, first 2 shown]
	v_mul_lo_u16 v0, 0x75, v135
	v_mul_lo_u16 v1, 0x75, v136
	v_and_b32_e32 v123, 0xffff, v113
	v_and_b32_e32 v124, 0xffff, v122
	v_add_nc_u32_e32 v121, 0x1ef, v112
	v_lshrrev_b16 v0, 8, v0
	v_lshrrev_b16 v1, 8, v1
	v_mul_u32_u24_e32 v4, 0xba2f, v123
	v_mul_u32_u24_e32 v5, 0xba2f, v124
	v_and_b32_e32 v125, 0xffff, v117
	v_sub_nc_u16 v2, v112, v0
	v_sub_nc_u16 v3, v116, v1
	v_lshrrev_b32_e32 v137, 19, v4
	v_lshrrev_b32_e32 v138, 19, v5
	v_and_b32_e32 v126, 0xffff, v121
	v_lshrrev_b16 v2, 1, v2
	v_lshrrev_b16 v3, 1, v3
	v_mul_u32_u24_e32 v6, 0xba2f, v125
	global_wb scope:SCOPE_SE
	s_wait_dscnt 0x0
	v_mul_u32_u24_e32 v7, 0xba2f, v126
	v_and_b32_e32 v2, 0x7f, v2
	v_and_b32_e32 v3, 0x7f, v3
	v_lshrrev_b32_e32 v139, 19, v6
	s_barrier_signal -1
	v_lshrrev_b32_e32 v140, 19, v7
	v_add_nc_u16 v0, v2, v0
	v_add_nc_u16 v1, v3, v1
	v_mul_lo_u16 v2, v138, 11
	v_mul_lo_u16 v3, v139, 11
	s_barrier_wait -1
	v_lshrrev_b16 v127, 3, v0
	v_mul_lo_u16 v0, v137, 11
	v_lshrrev_b16 v128, 3, v1
	v_sub_nc_u16 v2, v122, v2
	global_inv scope:SCOPE_SE
	v_mul_lo_u16 v1, v127, 11
	v_sub_nc_u16 v0, v113, v0
	v_mul_lo_u16 v4, v128, 11
	v_and_b32_e32 v132, 0xffff, v2
	v_sub_nc_u16 v3, v117, v3
	v_sub_nc_u16 v1, v112, v1
	v_and_b32_e32 v130, 0xffff, v0
	v_sub_nc_u16 v2, v116, v4
	v_lshlrev_b32_e32 v4, 5, v132
	v_mul_lo_u16 v0, v140, 11
	v_and_b32_e32 v129, 0xff, v1
	v_lshlrev_b32_e32 v1, 5, v130
	v_and_b32_e32 v131, 0xff, v2
	v_and_b32_e32 v133, 0xffff, v3
	v_sub_nc_u16 v0, v121, v0
	v_lshlrev_b32_e32 v2, 5, v129
	s_clause 0x1
	global_load_b128 v[32:35], v1, s[4:5] offset:16
	global_load_b128 v[56:59], v1, s[4:5]
	v_lshlrev_b32_e32 v1, 5, v131
	global_load_b128 v[16:19], v4, s[4:5]
	v_and_b32_e32 v134, 0xffff, v0
	s_clause 0x3
	global_load_b128 v[28:31], v2, s[4:5] offset:16
	global_load_b128 v[48:51], v2, s[4:5]
	global_load_b128 v[20:23], v1, s[4:5] offset:16
	global_load_b128 v[44:47], v1, s[4:5]
	v_lshlrev_b32_e32 v0, 5, v133
	global_load_b128 v[36:39], v4, s[4:5] offset:16
	v_lshlrev_b32_e32 v1, 5, v134
	s_clause 0x3
	global_load_b128 v[40:43], v0, s[4:5]
	global_load_b128 v[24:27], v0, s[4:5] offset:16
	global_load_b128 v[60:63], v1, s[4:5]
	global_load_b128 v[52:55], v1, s[4:5] offset:16
	v_mad_i32_i24 v119, 0xffffff60, v112, v64
	ds_load_b128 v[108:111], v118 offset:12672
	ds_load_b128 v[104:107], v118 offset:22176
	;; [unrolled: 1-line block ×7, first 2 shown]
	v_lshl_add_u32 v120, v116, 4, 0
	ds_load_b128 v[76:79], v118 offset:23760
	ds_load_b128 v[80:83], v118 offset:15840
	;; [unrolled: 1-line block ×5, first 2 shown]
	ds_load_b128 v[4:7], v118
	ds_load_b128 v[0:3], v120
	v_mul_lo_u16 v165, 0xf9, v135
	v_mul_lo_u16 v166, 0xf9, v136
	ds_load_b128 v[12:15], v119 offset:3168
	ds_load_b128 v[8:11], v119 offset:4752
	v_mul_u32_u24_e32 v167, 0x210, v140
	s_mov_b32 s2, 0xe8584caa
	s_mov_b32 s3, 0x3febb67a
	;; [unrolled: 1-line block ×3, first 2 shown]
	s_wait_alu 0xfffe
	s_mov_b32 s6, s2
	s_wait_loadcnt_dscnt 0xb0e
	v_mul_f64_e32 v[143:144], v[106:107], v[34:35]
	s_wait_loadcnt 0xa
	v_mul_f64_e32 v[141:142], v[110:111], v[58:59]
	v_mul_f64_e32 v[58:59], v[108:109], v[58:59]
	;; [unrolled: 1-line block ×3, first 2 shown]
	s_wait_loadcnt_dscnt 0x90d
	v_mul_f64_e32 v[145:146], v[66:67], v[18:19]
	s_wait_loadcnt_dscnt 0x70c
	v_mul_f64_e32 v[147:148], v[98:99], v[50:51]
	s_wait_dscnt 0xb
	v_mul_f64_e32 v[149:150], v[102:103], v[30:31]
	v_mul_f64_e32 v[50:51], v[96:97], v[50:51]
	;; [unrolled: 1-line block ×3, first 2 shown]
	s_wait_loadcnt_dscnt 0x50a
	v_mul_f64_e32 v[151:152], v[86:87], v[46:47]
	s_wait_dscnt 0x9
	v_mul_f64_e32 v[153:154], v[90:91], v[22:23]
	v_mul_f64_e32 v[46:47], v[84:85], v[46:47]
	;; [unrolled: 1-line block ×4, first 2 shown]
	s_wait_loadcnt_dscnt 0x408
	v_mul_f64_e32 v[155:156], v[78:79], v[38:39]
	v_mul_f64_e32 v[38:39], v[76:77], v[38:39]
	s_wait_loadcnt_dscnt 0x307
	v_mul_f64_e32 v[157:158], v[82:83], v[42:43]
	v_mul_f64_e32 v[42:43], v[80:81], v[42:43]
	;; [unrolled: 3-line block ×3, first 2 shown]
	s_wait_loadcnt 0x1
	v_mul_f64_e32 v[161:162], v[70:71], v[62:63]
	v_mul_f64_e32 v[62:63], v[68:69], v[62:63]
	s_wait_loadcnt_dscnt 0x4
	v_mul_f64_e32 v[163:164], v[74:75], v[54:55]
	v_mul_f64_e32 v[54:55], v[72:73], v[54:55]
	v_fma_f64 v[135:136], v[108:109], v[56:57], -v[141:142]
	v_fma_f64 v[56:57], v[110:111], v[56:57], v[58:59]
	v_fma_f64 v[58:59], v[104:105], v[32:33], -v[143:144]
	v_fma_f64 v[32:33], v[106:107], v[32:33], v[34:35]
	v_fma_f64 v[34:35], v[64:65], v[16:17], -v[145:146]
	v_fma_f64 v[64:65], v[96:97], v[48:49], -v[147:148]
	;; [unrolled: 1-line block ×3, first 2 shown]
	v_fma_f64 v[48:49], v[98:99], v[48:49], v[50:51]
	v_fma_f64 v[28:29], v[102:103], v[28:29], v[30:31]
	v_fma_f64 v[30:31], v[84:85], v[44:45], -v[151:152]
	v_fma_f64 v[50:51], v[88:89], v[20:21], -v[153:154]
	v_fma_f64 v[44:45], v[86:87], v[44:45], v[46:47]
	v_fma_f64 v[46:47], v[90:91], v[20:21], v[22:23]
	;; [unrolled: 1-line block ×3, first 2 shown]
	v_fma_f64 v[76:77], v[76:77], v[36:37], -v[155:156]
	v_fma_f64 v[36:37], v[78:79], v[36:37], v[38:39]
	v_fma_f64 v[38:39], v[80:81], v[40:41], -v[157:158]
	v_fma_f64 v[40:41], v[82:83], v[40:41], v[42:43]
	v_fma_f64 v[42:43], v[92:93], v[24:25], -v[159:160]
	v_fma_f64 v[24:25], v[94:95], v[24:25], v[26:27]
	v_fma_f64 v[26:27], v[68:69], v[60:61], -v[161:162]
	v_fma_f64 v[60:61], v[70:71], v[60:61], v[62:63]
	v_fma_f64 v[62:63], v[72:73], v[52:53], -v[163:164]
	v_fma_f64 v[52:53], v[74:75], v[52:53], v[54:55]
	v_lshrrev_b16 v100, 13, v165
	v_lshrrev_b16 v101, 13, v166
	v_mul_u32_u24_e32 v54, 0xf83f, v123
	v_mul_u32_u24_e32 v55, 0xf83f, v124
	;; [unrolled: 1-line block ×3, first 2 shown]
	v_mul_lo_u16 v72, v100, 33
	v_mul_lo_u16 v74, v101, 33
	v_mul_u32_u24_e32 v69, 0xf83f, v126
	v_lshrrev_b32_e32 v108, 21, v54
	v_lshrrev_b32_e32 v107, 21, v55
	v_sub_nc_u16 v86, v112, v72
	v_sub_nc_u16 v88, v116, v74
	v_lshrrev_b32_e32 v105, 21, v68
	v_lshrrev_b32_e32 v106, 21, v69
	v_mul_lo_u16 v90, v108, 33
	v_and_b32_e32 v103, 0xff, v86
	v_add_f64_e32 v[54:55], v[135:136], v[58:59]
	v_add_f64_e32 v[68:69], v[56:57], v[32:33]
	v_and_b32_e32 v102, 0xff, v88
	v_sub_nc_u16 v104, v113, v90
	v_add_f64_e32 v[70:71], v[64:65], v[96:97]
	ds_load_b128 v[16:19], v119 offset:6336
	ds_load_b128 v[20:23], v119 offset:7920
	v_add_f64_e32 v[72:73], v[48:49], v[28:29]
	s_wait_dscnt 0x5
	v_add_f64_e32 v[145:146], v[4:5], v[64:65]
	v_add_f64_e32 v[74:75], v[30:31], v[50:51]
	;; [unrolled: 1-line block ×4, first 2 shown]
	v_mul_lo_u16 v92, v107, 33
	v_add_f64_e32 v[80:81], v[34:35], v[76:77]
	v_add_f64_e32 v[82:83], v[66:67], v[36:37]
	v_mul_lo_u16 v93, v105, 33
	v_add_f64_e64 v[94:95], v[56:57], -v[32:33]
	v_add_f64_e32 v[84:85], v[38:39], v[42:43]
	v_add_f64_e32 v[86:87], v[40:41], v[24:25]
	s_wait_dscnt 0x3
	v_add_f64_e32 v[56:57], v[14:15], v[56:57]
	v_add_f64_e64 v[48:49], v[48:49], -v[28:29]
	v_add_f64_e32 v[88:89], v[26:27], v[62:63]
	v_add_f64_e32 v[90:91], v[60:61], v[52:53]
	v_add_f64_e64 v[64:65], v[64:65], -v[96:97]
	s_wait_dscnt 0x2
	v_add_f64_e32 v[109:110], v[10:11], v[66:67]
	v_add_f64_e32 v[149:150], v[0:1], v[30:31]
	;; [unrolled: 1-line block ×3, first 2 shown]
	v_mul_u32_u24_e32 v111, 0x210, v137
	v_mul_u32_u24_e32 v165, 0x210, v138
	s_wait_dscnt 0x1
	v_add_f64_e32 v[137:138], v[16:17], v[38:39]
	v_add_f64_e64 v[44:45], v[44:45], -v[46:47]
	v_add_f64_e64 v[153:154], v[30:31], -v[50:51]
	v_sub_nc_u16 v169, v122, v92
	v_sub_nc_u16 v170, v117, v93
	v_add_f64_e32 v[92:93], v[12:13], v[135:136]
	v_mul_u32_u24_e32 v166, 0x210, v139
	v_add_f64_e32 v[139:140], v[18:19], v[40:41]
	v_add_f64_e64 v[135:136], v[135:136], -v[58:59]
	v_add_f64_e32 v[98:99], v[8:9], v[34:35]
	v_fma_f64 v[54:55], v[54:55], -0.5, v[12:13]
	v_fma_f64 v[68:69], v[68:69], -0.5, v[14:15]
	v_add_f64_e64 v[66:67], v[66:67], -v[36:37]
	v_add_f64_e64 v[155:156], v[34:35], -v[76:77]
	v_fma_f64 v[70:71], v[70:71], -0.5, v[4:5]
	s_wait_dscnt 0x0
	v_add_f64_e32 v[143:144], v[22:23], v[60:61]
	v_fma_f64 v[72:73], v[72:73], -0.5, v[6:7]
	v_add_f64_e64 v[157:158], v[40:41], -v[24:25]
	v_fma_f64 v[74:75], v[74:75], -0.5, v[0:1]
	v_add_f64_e64 v[159:160], v[38:39], -v[42:43]
	v_fma_f64 v[78:79], v[78:79], -0.5, v[2:3]
	v_add_f64_e32 v[141:142], v[20:21], v[26:27]
	v_fma_f64 v[80:81], v[80:81], -0.5, v[8:9]
	v_fma_f64 v[82:83], v[82:83], -0.5, v[10:11]
	v_add_f64_e64 v[161:162], v[60:61], -v[52:53]
	v_add_f64_e64 v[163:164], v[26:27], -v[62:63]
	v_fma_f64 v[84:85], v[84:85], -0.5, v[16:17]
	v_fma_f64 v[86:87], v[86:87], -0.5, v[18:19]
	v_add_f64_e32 v[16:17], v[145:146], v[96:97]
	v_add_f64_e32 v[18:19], v[147:148], v[28:29]
	v_fma_f64 v[88:89], v[88:89], -0.5, v[20:21]
	v_fma_f64 v[90:91], v[90:91], -0.5, v[22:23]
	v_add_f64_e32 v[2:3], v[56:57], v[32:33]
	v_add_f64_e32 v[6:7], v[109:110], v[36:37]
	;; [unrolled: 1-line block ×4, first 2 shown]
	v_lshlrev_b32_e32 v171, 5, v103
	v_mul_lo_u16 v168, v106, 33
	v_add_f64_e32 v[8:9], v[137:138], v[42:43]
	v_and_b32_e32 v104, 0xffff, v104
	v_lshlrev_b32_e32 v172, 5, v102
	v_and_b32_e32 v109, 0xffff, v169
	global_wb scope:SCOPE_SE
	v_add_f64_e32 v[0:1], v[92:93], v[58:59]
	s_barrier_signal -1
	v_add_f64_e32 v[10:11], v[139:140], v[24:25]
	s_barrier_wait -1
	v_add_f64_e32 v[4:5], v[98:99], v[76:77]
	v_fma_f64 v[24:25], v[94:95], s[2:3], v[54:55]
	s_wait_alu 0xfffe
	v_fma_f64 v[26:27], v[135:136], s[6:7], v[68:69]
	v_fma_f64 v[28:29], v[94:95], s[6:7], v[54:55]
	;; [unrolled: 1-line block ×13, first 2 shown]
	v_add_f64_e32 v[14:15], v[143:144], v[52:53]
	v_fma_f64 v[52:53], v[66:67], s[6:7], v[80:81]
	v_fma_f64 v[54:55], v[155:156], s[2:3], v[82:83]
	;; [unrolled: 1-line block ×4, first 2 shown]
	v_add_f64_e32 v[12:13], v[141:142], v[62:63]
	v_fma_f64 v[60:61], v[157:158], s[6:7], v[84:85]
	v_fma_f64 v[62:63], v[159:160], s[2:3], v[86:87]
	;; [unrolled: 1-line block ×6, first 2 shown]
	v_and_b32_e32 v76, 0xffff, v127
	v_and_b32_e32 v77, 0xffff, v128
	v_lshlrev_b32_e32 v78, 4, v129
	v_lshlrev_b32_e32 v79, 4, v131
	v_lshlrev_b32_e32 v72, 4, v130
	v_mul_u32_u24_e32 v76, 0x210, v76
	v_mul_u32_u24_e32 v77, 0x210, v77
	v_lshlrev_b32_e32 v73, 4, v132
	v_lshlrev_b32_e32 v74, 4, v133
	;; [unrolled: 1-line block ×3, first 2 shown]
	v_add3_u32 v76, 0, v76, v78
	v_add3_u32 v77, 0, v77, v79
	;; [unrolled: 1-line block ×6, first 2 shown]
	global_inv scope:SCOPE_SE
	ds_store_b128 v76, v[16:19]
	ds_store_b128 v76, v[32:35] offset:176
	ds_store_b128 v76, v[36:39] offset:352
	ds_store_b128 v77, v[20:23]
	ds_store_b128 v77, v[40:43] offset:176
	ds_store_b128 v77, v[44:47] offset:352
	;; [unrolled: 3-line block ×6, first 2 shown]
	global_wb scope:SCOPE_SE
	s_wait_dscnt 0x0
	s_barrier_signal -1
	s_barrier_wait -1
	global_inv scope:SCOPE_SE
	s_clause 0x1
	global_load_b128 v[4:7], v171, s[4:5] offset:368
	global_load_b128 v[8:11], v171, s[4:5] offset:352
	v_sub_nc_u16 v0, v121, v168
	v_lshlrev_b32_e32 v1, 5, v104
	s_clause 0x1
	global_load_b128 v[24:27], v172, s[4:5] offset:352
	global_load_b128 v[20:23], v172, s[4:5] offset:368
	v_and_b32_e32 v110, 0xffff, v170
	v_lshlrev_b32_e32 v2, 5, v109
	v_and_b32_e32 v111, 0xffff, v0
	s_clause 0x1
	global_load_b128 v[28:31], v1, s[4:5] offset:352
	global_load_b128 v[36:39], v1, s[4:5] offset:368
	v_lshlrev_b32_e32 v0, 5, v110
	s_clause 0x1
	global_load_b128 v[40:43], v2, s[4:5] offset:352
	global_load_b128 v[32:35], v2, s[4:5] offset:368
	v_lshlrev_b32_e32 v1, 5, v111
	s_clause 0x3
	global_load_b128 v[16:19], v0, s[4:5] offset:352
	global_load_b128 v[12:15], v0, s[4:5] offset:368
	;; [unrolled: 1-line block ×4, first 2 shown]
	ds_load_b128 v[96:99], v119 offset:9504
	ds_load_b128 v[92:95], v118 offset:19008
	;; [unrolled: 1-line block ×8, first 2 shown]
	ds_load_b128 v[0:3], v120
	ds_load_b128 v[60:63], v118 offset:15840
	ds_load_b128 v[52:55], v118 offset:17424
	;; [unrolled: 1-line block ×4, first 2 shown]
	ds_load_b128 v[127:130], v118
	v_mul_u32_u24_e32 v157, 0x630, v106
	s_wait_loadcnt_dscnt 0xb0c
	v_mul_f64_e32 v[133:134], v[94:95], v[6:7]
	s_wait_loadcnt 0xa
	v_mul_f64_e32 v[131:132], v[98:99], v[10:11]
	v_mul_f64_e32 v[10:11], v[96:97], v[10:11]
	;; [unrolled: 1-line block ×3, first 2 shown]
	s_wait_loadcnt_dscnt 0x90b
	v_mul_f64_e32 v[137:138], v[90:91], v[26:27]
	v_mul_f64_e32 v[26:27], v[88:89], v[26:27]
	s_wait_loadcnt_dscnt 0x80a
	v_mul_f64_e32 v[139:140], v[86:87], v[22:23]
	v_mul_f64_e32 v[22:23], v[84:85], v[22:23]
	;; [unrolled: 3-line block ×6, first 2 shown]
	s_wait_loadcnt_dscnt 0x304
	v_mul_f64_e32 v[149:150], v[62:63], v[18:19]
	s_wait_loadcnt_dscnt 0x202
	v_mul_f64_e32 v[151:152], v[66:67], v[14:15]
	v_mul_f64_e32 v[18:19], v[60:61], v[18:19]
	;; [unrolled: 1-line block ×3, first 2 shown]
	s_wait_loadcnt 0x1
	v_mul_f64_e32 v[153:154], v[54:55], v[50:51]
	s_wait_loadcnt_dscnt 0x1
	v_mul_f64_e32 v[155:156], v[58:59], v[46:47]
	v_mul_f64_e32 v[50:51], v[52:53], v[50:51]
	;; [unrolled: 1-line block ×3, first 2 shown]
	v_dual_mov_b32 v7, 0 :: v_dual_lshlrev_b32 v6, 1, v112
	v_fma_f64 v[92:93], v[92:93], v[4:5], -v[133:134]
	v_fma_f64 v[96:97], v[96:97], v[8:9], -v[131:132]
	v_fma_f64 v[98:99], v[98:99], v[8:9], v[10:11]
	v_fma_f64 v[94:95], v[94:95], v[4:5], v[135:136]
	v_fma_f64 v[88:89], v[88:89], v[24:25], -v[137:138]
	v_fma_f64 v[24:25], v[90:91], v[24:25], v[26:27]
	v_fma_f64 v[26:27], v[84:85], v[20:21], -v[139:140]
	;; [unrolled: 2-line block ×7, first 2 shown]
	v_fma_f64 v[60:61], v[64:65], v[12:13], -v[151:152]
	v_fma_f64 v[62:63], v[62:63], v[16:17], v[18:19]
	v_fma_f64 v[64:65], v[66:67], v[12:13], v[14:15]
	v_fma_f64 v[52:53], v[52:53], v[48:49], -v[153:154]
	v_fma_f64 v[56:57], v[56:57], v[44:45], -v[155:156]
	v_fma_f64 v[48:49], v[54:55], v[48:49], v[50:51]
	v_fma_f64 v[44:45], v[58:59], v[44:45], v[46:47]
	v_and_b32_e32 v76, 0xffff, v101
	v_mul_u32_u24_e32 v8, 0xa57f, v124
	v_mul_u32_u24_e32 v9, 0xa57f, v125
	;; [unrolled: 1-line block ×3, first 2 shown]
	v_and_b32_e32 v11, 0xffff, v100
	v_mul_u32_u24_e32 v153, 0x630, v76
	v_lshrrev_b32_e32 v149, 22, v8
	v_lshrrev_b32_e32 v150, 22, v9
	;; [unrolled: 1-line block ×3, first 2 shown]
	v_mul_u32_u24_e32 v152, 0x630, v11
	ds_load_b128 v[8:11], v119 offset:3168
	ds_load_b128 v[12:15], v119 offset:4752
	;; [unrolled: 1-line block ×4, first 2 shown]
	v_lshlrev_b64_e32 v[4:5], 4, v[6:7]
	v_mul_u32_u24_e32 v6, 0xa57f, v123
	v_mul_u32_u24_e32 v156, 0x630, v105
	v_add_f64_e32 v[46:47], v[96:97], v[92:93]
	s_wait_dscnt 0x4
	v_add_f64_e32 v[86:87], v[127:128], v[96:97]
	v_add_f64_e32 v[50:51], v[98:99], v[94:95]
	v_add_f64_e64 v[90:91], v[98:99], -v[94:95]
	v_add_f64_e32 v[98:99], v[129:130], v[98:99]
	v_add_f64_e32 v[54:55], v[88:89], v[26:27]
	;; [unrolled: 1-line block ×3, first 2 shown]
	v_add_f64_e64 v[96:97], v[96:97], -v[92:93]
	v_add_f64_e32 v[100:101], v[0:1], v[88:89]
	v_add_f64_e32 v[66:67], v[80:81], v[30:31]
	;; [unrolled: 1-line block ×4, first 2 shown]
	v_mul_u32_u24_e32 v154, 0x630, v108
	v_add_f64_e32 v[70:71], v[38:39], v[42:43]
	v_add_f64_e32 v[72:73], v[40:41], v[32:33]
	s_wait_dscnt 0x2
	v_add_f64_e32 v[131:132], v[14:15], v[40:41]
	v_add_f64_e32 v[74:75], v[34:35], v[60:61]
	;; [unrolled: 1-line block ×6, first 2 shown]
	v_mul_u32_u24_e32 v155, 0x630, v107
	v_add_f64_e32 v[82:83], v[48:49], v[44:45]
	v_add_f64_e32 v[107:108], v[8:9], v[80:81]
	s_wait_dscnt 0x0
	v_add_f64_e32 v[139:140], v[22:23], v[48:49]
	v_add_f64_e64 v[80:81], v[80:81], -v[30:31]
	v_add_f64_e32 v[137:138], v[20:21], v[52:53]
	v_add_f64_e32 v[133:134], v[16:17], v[34:35]
	;; [unrolled: 1-line block ×3, first 2 shown]
	v_add_f64_e64 v[141:142], v[62:63], -v[64:65]
	v_add_f64_e64 v[143:144], v[34:35], -v[60:61]
	;; [unrolled: 1-line block ×4, first 2 shown]
	v_lshrrev_b32_e32 v6, 22, v6
	v_mul_lo_u16 v149, 0x63, v149
	v_add_co_u32 v4, s0, s4, v4
	v_mul_lo_u16 v150, 0x63, v150
	v_fma_f64 v[46:47], v[46:47], -0.5, v[127:128]
	v_add_f64_e64 v[127:128], v[24:25], -v[84:85]
	v_fma_f64 v[50:51], v[50:51], -0.5, v[129:130]
	v_add_f64_e64 v[129:130], v[38:39], -v[42:43]
	v_mul_lo_u16 v6, 0x63, v6
	v_fma_f64 v[0:1], v[54:55], -0.5, v[0:1]
	v_add_f64_e64 v[54:55], v[88:89], -v[26:27]
	v_fma_f64 v[2:3], v[58:59], -0.5, v[2:3]
	v_add_f64_e64 v[58:59], v[28:29], -v[36:37]
	v_fma_f64 v[66:67], v[66:67], -0.5, v[8:9]
	v_fma_f64 v[68:69], v[68:69], -0.5, v[10:11]
	v_add_f64_e64 v[88:89], v[40:41], -v[32:33]
	v_add_f64_e32 v[8:9], v[86:87], v[92:93]
	v_fma_f64 v[70:71], v[70:71], -0.5, v[12:13]
	v_fma_f64 v[72:73], v[72:73], -0.5, v[14:15]
	v_add_f64_e32 v[10:11], v[98:99], v[94:95]
	v_fma_f64 v[74:75], v[74:75], -0.5, v[16:17]
	v_add_f64_e32 v[12:13], v[100:101], v[26:27]
	;; [unrolled: 2-line block ×5, first 2 shown]
	v_add_f64_e32 v[20:21], v[125:126], v[42:43]
	v_add_f64_e32 v[16:17], v[107:108], v[30:31]
	;; [unrolled: 1-line block ×6, first 2 shown]
	s_wait_alu 0xf1ff
	v_add_co_ci_u32_e64 v5, s0, s5, v5, s0
	global_wb scope:SCOPE_SE
	s_barrier_signal -1
	s_barrier_wait -1
	global_inv scope:SCOPE_SE
	v_fma_f64 v[32:33], v[90:91], s[2:3], v[46:47]
	v_fma_f64 v[36:37], v[90:91], s[6:7], v[46:47]
	;; [unrolled: 1-line block ×24, first 2 shown]
	v_lshlrev_b32_e32 v1, 4, v103
	v_sub_nc_u16 v0, v113, v6
	v_lshlrev_b32_e32 v6, 4, v102
	v_sub_nc_u16 v3, v122, v149
	v_lshlrev_b32_e32 v80, 4, v104
	v_add3_u32 v1, 0, v152, v1
	v_lshlrev_b32_e32 v81, 4, v109
	v_lshlrev_b32_e32 v82, 4, v110
	;; [unrolled: 1-line block ×3, first 2 shown]
	v_mul_lo_u16 v2, 0x63, v151
	v_and_b32_e32 v0, 0xffff, v0
	v_add3_u32 v6, 0, v153, v6
	v_add3_u32 v80, 0, v154, v80
	;; [unrolled: 1-line block ×5, first 2 shown]
	ds_store_b128 v1, v[8:11]
	ds_store_b128 v1, v[32:35] offset:528
	ds_store_b128 v1, v[36:39] offset:1056
	ds_store_b128 v6, v[12:15]
	ds_store_b128 v6, v[40:43] offset:528
	ds_store_b128 v6, v[44:47] offset:1056
	;; [unrolled: 3-line block ×6, first 2 shown]
	v_sub_nc_u16 v6, v117, v150
	v_and_b32_e32 v1, 0xffff, v3
	global_wb scope:SCOPE_SE
	s_wait_dscnt 0x0
	s_barrier_signal -1
	s_barrier_wait -1
	global_inv scope:SCOPE_SE
	s_clause 0x1
	global_load_b128 v[8:11], v[4:5], off offset:1424
	global_load_b128 v[12:15], v[4:5], off offset:1408
	v_lshlrev_b32_e32 v20, 5, v0
	v_sub_nc_u16 v3, v121, v2
	v_and_b32_e32 v2, 0xffff, v6
	v_lshlrev_b32_e32 v6, 5, v1
	v_lshl_add_u32 v0, v0, 4, 0
	global_load_b128 v[16:19], v20, s[4:5] offset:1408
	v_and_b32_e32 v3, 0xffff, v3
	global_load_b128 v[20:23], v20, s[4:5] offset:1424
	v_lshlrev_b32_e32 v36, 5, v2
	s_clause 0x1
	global_load_b128 v[24:27], v6, s[4:5] offset:1408
	global_load_b128 v[28:31], v6, s[4:5] offset:1424
	v_lshl_add_u32 v1, v1, 4, 0
	v_lshlrev_b32_e32 v6, 5, v3
	s_clause 0x3
	global_load_b128 v[32:35], v36, s[4:5] offset:1408
	global_load_b128 v[36:39], v36, s[4:5] offset:1424
	;; [unrolled: 1-line block ×4, first 2 shown]
	ds_load_b128 v[48:51], v119 offset:9504
	ds_load_b128 v[52:55], v118 offset:19008
	;; [unrolled: 1-line block ×8, first 2 shown]
	ds_load_b128 v[80:83], v120
	ds_load_b128 v[84:87], v118 offset:15840
	ds_load_b128 v[88:91], v118 offset:17424
	;; [unrolled: 1-line block ×4, first 2 shown]
	ds_load_b128 v[100:103], v118
	v_lshlrev_b32_e32 v6, 1, v116
	v_lshl_add_u32 v2, v2, 4, 0
	v_lshl_add_u32 v3, v3, 4, 0
	v_mov_b32_e32 v117, v7
	s_wait_loadcnt_dscnt 0x90c
	v_mul_f64_e32 v[108:109], v[54:55], v[10:11]
	s_wait_loadcnt 0x8
	v_mul_f64_e32 v[104:105], v[50:51], v[14:15]
	v_mul_f64_e32 v[106:107], v[48:49], v[14:15]
	;; [unrolled: 1-line block ×3, first 2 shown]
	s_wait_dscnt 0xb
	v_mul_f64_e32 v[121:122], v[58:59], v[14:15]
	v_mul_f64_e32 v[14:15], v[56:57], v[14:15]
	s_wait_dscnt 0xa
	v_mul_f64_e32 v[123:124], v[62:63], v[10:11]
	v_mul_f64_e32 v[10:11], v[60:61], v[10:11]
	s_wait_loadcnt_dscnt 0x709
	v_mul_f64_e32 v[125:126], v[66:67], v[18:19]
	v_mul_f64_e32 v[18:19], v[64:65], v[18:19]
	s_wait_loadcnt_dscnt 0x608
	;; [unrolled: 3-line block ×5, first 2 shown]
	v_mul_f64_e32 v[133:134], v[86:87], v[34:35]
	s_wait_loadcnt_dscnt 0x202
	v_mul_f64_e32 v[135:136], v[94:95], v[38:39]
	v_mul_f64_e32 v[34:35], v[84:85], v[34:35]
	;; [unrolled: 1-line block ×3, first 2 shown]
	s_wait_loadcnt 0x1
	v_mul_f64_e32 v[137:138], v[90:91], v[42:43]
	s_wait_loadcnt_dscnt 0x1
	v_mul_f64_e32 v[139:140], v[98:99], v[46:47]
	v_mul_f64_e32 v[42:43], v[88:89], v[42:43]
	;; [unrolled: 1-line block ×3, first 2 shown]
	v_fma_f64 v[52:53], v[52:53], v[8:9], -v[108:109]
	v_fma_f64 v[48:49], v[48:49], v[12:13], -v[104:105]
	v_fma_f64 v[50:51], v[50:51], v[12:13], v[106:107]
	v_fma_f64 v[54:55], v[54:55], v[8:9], v[110:111]
	v_fma_f64 v[56:57], v[56:57], v[12:13], -v[121:122]
	v_fma_f64 v[58:59], v[58:59], v[12:13], v[14:15]
	v_fma_f64 v[60:61], v[60:61], v[8:9], -v[123:124]
	;; [unrolled: 2-line block ×7, first 2 shown]
	v_fma_f64 v[74:75], v[92:93], v[36:37], -v[135:136]
	v_fma_f64 v[32:33], v[86:87], v[32:33], v[34:35]
	v_fma_f64 v[34:35], v[94:95], v[36:37], v[38:39]
	v_fma_f64 v[36:37], v[88:89], v[40:41], -v[137:138]
	v_fma_f64 v[38:39], v[96:97], v[44:45], -v[139:140]
	v_fma_f64 v[40:41], v[90:91], v[40:41], v[42:43]
	v_fma_f64 v[42:43], v[98:99], v[44:45], v[46:47]
	ds_load_b128 v[8:11], v119 offset:3168
	ds_load_b128 v[12:15], v119 offset:4752
	;; [unrolled: 1-line block ×4, first 2 shown]
	global_wb scope:SCOPE_SE
	s_wait_dscnt 0x0
	s_barrier_signal -1
	s_barrier_wait -1
	global_inv scope:SCOPE_SE
	v_add_f64_e32 v[44:45], v[48:49], v[52:53]
	v_add_f64_e32 v[104:105], v[100:101], v[48:49]
	;; [unrolled: 1-line block ×3, first 2 shown]
	v_add_f64_e64 v[106:107], v[50:51], -v[54:55]
	v_add_f64_e32 v[50:51], v[102:103], v[50:51]
	v_add_f64_e32 v[76:77], v[56:57], v[60:61]
	;; [unrolled: 1-line block ×3, first 2 shown]
	v_add_f64_e64 v[48:49], v[48:49], -v[52:53]
	v_add_f64_e32 v[108:109], v[80:81], v[56:57]
	v_add_f64_e32 v[84:85], v[64:65], v[68:69]
	;; [unrolled: 1-line block ×15, first 2 shown]
	v_add_f64_e64 v[58:59], v[58:59], -v[62:63]
	v_add_f64_e64 v[56:57], v[56:57], -v[60:61]
	v_add_f64_e32 v[121:122], v[8:9], v[64:65]
	v_add_f64_e32 v[123:124], v[10:11], v[66:67]
	v_add_f64_e64 v[66:67], v[66:67], -v[70:71]
	v_add_f64_e64 v[64:65], v[64:65], -v[68:69]
	;; [unrolled: 1-line block ×3, first 2 shown]
	v_add_f64_e32 v[129:130], v[16:17], v[30:31]
	v_add_f64_e64 v[137:138], v[36:37], -v[38:39]
	v_fma_f64 v[44:45], v[44:45], -0.5, v[100:101]
	v_add_f64_e64 v[100:101], v[30:31], -v[74:75]
	v_fma_f64 v[46:47], v[46:47], -0.5, v[102:103]
	;; [unrolled: 2-line block ×3, first 2 shown]
	v_fma_f64 v[78:79], v[78:79], -0.5, v[82:83]
	v_fma_f64 v[80:81], v[84:85], -0.5, v[8:9]
	;; [unrolled: 1-line block ×3, first 2 shown]
	v_add_f64_e64 v[84:85], v[24:25], -v[28:29]
	v_add_f64_e32 v[8:9], v[104:105], v[52:53]
	v_fma_f64 v[86:87], v[88:89], -0.5, v[12:13]
	v_fma_f64 v[88:89], v[90:91], -0.5, v[14:15]
	v_add_f64_e64 v[90:91], v[32:33], -v[34:35]
	v_fma_f64 v[92:93], v[92:93], -0.5, v[16:17]
	v_add_f64_e32 v[10:11], v[50:51], v[54:55]
	v_fma_f64 v[94:95], v[94:95], -0.5, v[18:19]
	v_add_f64_e32 v[12:13], v[108:109], v[60:61]
	;; [unrolled: 2-line block ×4, first 2 shown]
	v_add_f64_e32 v[22:23], v[127:128], v[28:29]
	v_add_f64_e32 v[28:29], v[133:134], v[38:39]
	;; [unrolled: 1-line block ×7, first 2 shown]
	v_fma_f64 v[32:33], v[106:107], s[2:3], v[44:45]
	v_fma_f64 v[36:37], v[106:107], s[6:7], v[44:45]
	;; [unrolled: 1-line block ×24, first 2 shown]
	v_lshlrev_b64_e32 v[80:81], 4, v[6:7]
	v_lshlrev_b32_e32 v6, 1, v113
	ds_store_b128 v118, v[8:11]
	ds_store_b128 v118, v[32:35] offset:1584
	ds_store_b128 v118, v[36:39] offset:3168
	;; [unrolled: 1-line block ×17, first 2 shown]
	v_lshlrev_b64_e32 v[82:83], 4, v[6:7]
	v_add_co_u32 v80, s0, s4, v80
	s_wait_alu 0xf1ff
	v_add_co_ci_u32_e64 v81, s0, s5, v81, s0
	global_wb scope:SCOPE_SE
	s_wait_dscnt 0x0
	s_barrier_signal -1
	s_barrier_wait -1
	global_inv scope:SCOPE_SE
	s_clause 0x1
	global_load_b128 v[0:3], v[4:5], off offset:4592
	global_load_b128 v[8:11], v[4:5], off offset:4576
	v_add_co_u32 v4, s0, s4, v82
	s_wait_alu 0xf1ff
	v_add_co_ci_u32_e64 v5, s0, s5, v83, s0
	s_clause 0x3
	global_load_b128 v[12:15], v[80:81], off offset:4576
	global_load_b128 v[16:19], v[80:81], off offset:4592
	;; [unrolled: 1-line block ×4, first 2 shown]
	ds_load_b128 v[28:31], v119 offset:9504
	ds_load_b128 v[32:35], v118 offset:19008
	;; [unrolled: 1-line block ×8, first 2 shown]
	ds_load_b128 v[60:63], v120
	ds_load_b128 v[64:67], v118 offset:15840
	ds_load_b128 v[68:71], v118 offset:17424
	;; [unrolled: 1-line block ×4, first 2 shown]
	ds_load_b128 v[80:83], v118
	v_mov_b32_e32 v113, v7
	s_wait_loadcnt_dscnt 0x50c
	v_mul_f64_e32 v[86:87], v[34:35], v[2:3]
	s_wait_loadcnt 0x4
	v_mul_f64_e32 v[4:5], v[30:31], v[10:11]
	v_mul_f64_e32 v[84:85], v[28:29], v[10:11]
	v_mul_f64_e32 v[88:89], v[32:33], v[2:3]
	s_wait_loadcnt_dscnt 0x30b
	v_mul_f64_e32 v[90:91], v[38:39], v[14:15]
	v_mul_f64_e32 v[92:93], v[36:37], v[14:15]
	s_wait_loadcnt_dscnt 0x20a
	v_mul_f64_e32 v[94:95], v[42:43], v[18:19]
	v_mul_f64_e32 v[96:97], v[40:41], v[18:19]
	;; [unrolled: 3-line block ×4, first 2 shown]
	s_wait_dscnt 0x7
	v_mul_f64_e32 v[106:107], v[54:55], v[10:11]
	v_mul_f64_e32 v[10:11], v[52:53], v[10:11]
	s_wait_dscnt 0x6
	v_mul_f64_e32 v[108:109], v[58:59], v[2:3]
	v_mul_f64_e32 v[2:3], v[56:57], v[2:3]
	s_wait_dscnt 0x4
	v_mul_f64_e32 v[110:111], v[66:67], v[14:15]
	s_wait_dscnt 0x2
	v_mul_f64_e32 v[121:122], v[74:75], v[18:19]
	v_mul_f64_e32 v[14:15], v[64:65], v[14:15]
	;; [unrolled: 1-line block ×4, first 2 shown]
	s_wait_dscnt 0x1
	v_mul_f64_e32 v[125:126], v[78:79], v[26:27]
	v_mul_f64_e32 v[22:23], v[68:69], v[22:23]
	;; [unrolled: 1-line block ×3, first 2 shown]
	v_fma_f64 v[4:5], v[28:29], v[8:9], -v[4:5]
	v_fma_f64 v[28:29], v[30:31], v[8:9], v[84:85]
	v_fma_f64 v[30:31], v[32:33], v[0:1], -v[86:87]
	v_fma_f64 v[32:33], v[34:35], v[0:1], v[88:89]
	;; [unrolled: 2-line block ×8, first 2 shown]
	v_fma_f64 v[58:59], v[64:65], v[12:13], -v[110:111]
	v_fma_f64 v[64:65], v[72:73], v[16:17], -v[121:122]
	v_fma_f64 v[66:67], v[66:67], v[12:13], v[14:15]
	v_fma_f64 v[72:73], v[74:75], v[16:17], v[18:19]
	v_fma_f64 v[68:69], v[68:69], v[20:21], -v[123:124]
	v_fma_f64 v[74:75], v[76:77], v[24:25], -v[125:126]
	v_fma_f64 v[20:21], v[70:71], v[20:21], v[22:23]
	v_fma_f64 v[70:71], v[78:79], v[24:25], v[26:27]
	ds_load_b128 v[0:3], v119 offset:3168
	ds_load_b128 v[8:11], v119 offset:4752
	;; [unrolled: 1-line block ×4, first 2 shown]
	global_wb scope:SCOPE_SE
	s_wait_dscnt 0x0
	s_barrier_signal -1
	s_barrier_wait -1
	global_inv scope:SCOPE_SE
	v_add_f64_e32 v[98:99], v[80:81], v[4:5]
	v_add_f64_e32 v[22:23], v[4:5], v[30:31]
	;; [unrolled: 1-line block ×3, first 2 shown]
	v_add_f64_e64 v[100:101], v[28:29], -v[32:33]
	v_add_f64_e32 v[28:29], v[82:83], v[28:29]
	v_add_f64_e32 v[26:27], v[34:35], v[38:39]
	;; [unrolled: 1-line block ×4, first 2 shown]
	v_add_f64_e64 v[4:5], v[4:5], -v[30:31]
	v_add_f64_e32 v[78:79], v[42:43], v[46:47]
	v_add_f64_e32 v[84:85], v[44:45], v[48:49]
	;; [unrolled: 1-line block ×6, first 2 shown]
	v_add_f64_e64 v[131:132], v[36:37], -v[40:41]
	v_add_f64_e32 v[90:91], v[58:59], v[64:65]
	v_add_f64_e64 v[133:134], v[34:35], -v[38:39]
	v_add_f64_e32 v[92:93], v[66:67], v[72:73]
	v_add_f64_e32 v[108:109], v[2:3], v[44:45]
	;; [unrolled: 1-line block ×9, first 2 shown]
	v_add_f64_e64 v[135:136], v[58:59], -v[64:65]
	v_add_f64_e32 v[127:128], v[16:17], v[68:69]
	v_add_f64_e64 v[137:138], v[20:21], -v[70:71]
	v_add_f64_e64 v[139:140], v[68:69], -v[74:75]
	v_fma_f64 v[80:81], v[22:23], -0.5, v[80:81]
	v_fma_f64 v[82:83], v[24:25], -0.5, v[82:83]
	v_fma_f64 v[60:61], v[26:27], -0.5, v[60:61]
	v_fma_f64 v[62:63], v[76:77], -0.5, v[62:63]
	v_add_f64_e64 v[76:77], v[44:45], -v[48:49]
	v_fma_f64 v[0:1], v[78:79], -0.5, v[0:1]
	v_add_f64_e64 v[78:79], v[42:43], -v[46:47]
	v_fma_f64 v[2:3], v[84:85], -0.5, v[2:3]
	;; [unrolled: 2-line block ×5, first 2 shown]
	v_fma_f64 v[92:93], v[92:93], -0.5, v[14:15]
	v_add_f64_e32 v[12:13], v[98:99], v[30:31]
	v_fma_f64 v[94:95], v[94:95], -0.5, v[16:17]
	v_add_f64_e32 v[14:15], v[28:29], v[32:33]
	;; [unrolled: 2-line block ×3, first 2 shown]
	v_add_f64_e32 v[18:19], v[104:105], v[40:41]
	v_add_f64_e32 v[20:21], v[106:107], v[46:47]
	;; [unrolled: 1-line block ×9, first 2 shown]
	v_fma_f64 v[36:37], v[100:101], s[2:3], v[80:81]
	v_fma_f64 v[38:39], v[4:5], s[6:7], v[82:83]
	;; [unrolled: 1-line block ×24, first 2 shown]
	v_lshlrev_b64_e32 v[8:9], 4, v[112:113]
	v_lshlrev_b64_e32 v[0:1], 4, v[116:117]
	ds_store_b128 v118, v[12:15]
	ds_store_b128 v118, v[36:39] offset:4752
	ds_store_b128 v118, v[40:43] offset:9504
	ds_store_b128 v120, v[16:19]
	ds_store_b128 v120, v[44:47] offset:4752
	ds_store_b128 v120, v[48:51] offset:9504
	;; [unrolled: 1-line block ×14, first 2 shown]
	v_add_co_u32 v2, s0, s4, v8
	s_wait_alu 0xf1ff
	v_add_co_ci_u32_e64 v3, s0, s5, v9, s0
	v_add_co_u32 v10, s0, s4, v0
	s_wait_alu 0xf1ff
	v_add_co_ci_u32_e64 v11, s0, s5, v1, s0
	global_wb scope:SCOPE_SE
	s_wait_dscnt 0x0
	s_barrier_signal -1
	s_barrier_wait -1
	global_inv scope:SCOPE_SE
	s_clause 0x8
	global_load_b128 v[4:7], v[2:3], off offset:14080
	global_load_b128 v[12:15], v[10:11], off offset:14080
	global_load_b128 v[16:19], v[2:3], off offset:17248
	global_load_b128 v[20:23], v[2:3], off offset:18832
	global_load_b128 v[24:27], v[2:3], off offset:20416
	global_load_b128 v[28:31], v[2:3], off offset:22000
	global_load_b128 v[32:35], v[2:3], off offset:23584
	global_load_b128 v[36:39], v[2:3], off offset:25168
	global_load_b128 v[40:43], v[2:3], off offset:26752
	ds_load_b128 v[44:47], v118 offset:14256
	ds_load_b128 v[48:51], v118 offset:15840
	;; [unrolled: 1-line block ×10, first 2 shown]
	v_cmp_ne_u32_e64 s0, 0, v112
	s_wait_loadcnt_dscnt 0x809
	v_mul_f64_e32 v[0:1], v[46:47], v[6:7]
	v_mul_f64_e32 v[6:7], v[44:45], v[6:7]
	s_wait_loadcnt_dscnt 0x708
	v_mul_f64_e32 v[84:85], v[50:51], v[14:15]
	v_mul_f64_e32 v[14:15], v[48:49], v[14:15]
	s_wait_loadcnt_dscnt 0x607
	v_mul_f64_e32 v[86:87], v[54:55], v[18:19]
	v_mul_f64_e32 v[18:19], v[52:53], v[18:19]
	s_wait_loadcnt_dscnt 0x506
	v_mul_f64_e32 v[88:89], v[58:59], v[22:23]
	v_mul_f64_e32 v[22:23], v[56:57], v[22:23]
	s_wait_loadcnt_dscnt 0x405
	v_mul_f64_e32 v[90:91], v[62:63], v[26:27]
	v_mul_f64_e32 v[26:27], v[60:61], v[26:27]
	s_wait_loadcnt_dscnt 0x304
	v_mul_f64_e32 v[92:93], v[66:67], v[30:31]
	v_mul_f64_e32 v[30:31], v[64:65], v[30:31]
	s_wait_loadcnt_dscnt 0x203
	v_mul_f64_e32 v[94:95], v[70:71], v[34:35]
	v_mul_f64_e32 v[34:35], v[68:69], v[34:35]
	s_wait_loadcnt_dscnt 0x102
	v_mul_f64_e32 v[96:97], v[74:75], v[38:39]
	v_mul_f64_e32 v[38:39], v[72:73], v[38:39]
	s_wait_loadcnt_dscnt 0x1
	v_mul_f64_e32 v[98:99], v[78:79], v[42:43]
	v_mul_f64_e32 v[42:43], v[76:77], v[42:43]
	v_fma_f64 v[0:1], v[44:45], v[4:5], -v[0:1]
	v_fma_f64 v[44:45], v[46:47], v[4:5], v[6:7]
	v_fma_f64 v[46:47], v[48:49], v[12:13], -v[84:85]
	v_fma_f64 v[48:49], v[50:51], v[12:13], v[14:15]
	;; [unrolled: 2-line block ×9, first 2 shown]
	ds_load_b128 v[4:7], v118
	ds_load_b128 v[12:15], v120
	ds_load_b128 v[16:19], v119 offset:3168
	ds_load_b128 v[20:23], v119 offset:4752
	;; [unrolled: 1-line block ×6, first 2 shown]
	global_wb scope:SCOPE_SE
	s_wait_dscnt 0x0
	s_barrier_signal -1
	s_barrier_wait -1
	global_inv scope:SCOPE_SE
	v_add_f64_e64 v[40:41], v[4:5], -v[0:1]
	v_add_f64_e64 v[42:43], v[6:7], -v[44:45]
	v_add_f64_e64 v[44:45], v[12:13], -v[46:47]
	v_add_f64_e64 v[46:47], v[14:15], -v[48:49]
	v_add_f64_e64 v[48:49], v[16:17], -v[50:51]
	v_add_f64_e64 v[50:51], v[18:19], -v[52:53]
	v_add_f64_e64 v[52:53], v[20:21], -v[54:55]
	v_add_f64_e64 v[54:55], v[22:23], -v[56:57]
	v_add_f64_e64 v[56:57], v[24:25], -v[58:59]
	v_add_f64_e64 v[58:59], v[26:27], -v[60:61]
	v_add_f64_e64 v[60:61], v[28:29], -v[62:63]
	v_add_f64_e64 v[62:63], v[30:31], -v[64:65]
	v_add_f64_e64 v[64:65], v[32:33], -v[66:67]
	v_add_f64_e64 v[66:67], v[34:35], -v[68:69]
	v_add_f64_e64 v[68:69], v[36:37], -v[70:71]
	v_add_f64_e64 v[70:71], v[38:39], -v[72:73]
	v_add_f64_e64 v[72:73], v[80:81], -v[74:75]
	v_add_f64_e64 v[74:75], v[82:83], -v[76:77]
	v_lshlrev_b32_e32 v0, 4, v112
	v_fma_f64 v[4:5], v[4:5], 2.0, -v[40:41]
	v_fma_f64 v[6:7], v[6:7], 2.0, -v[42:43]
	;; [unrolled: 1-line block ×18, first 2 shown]
	ds_store_b128 v118, v[4:7]
	ds_store_b128 v118, v[40:43] offset:14256
	ds_store_b128 v120, v[12:15]
	ds_store_b128 v120, v[44:47] offset:14256
	ds_store_b128 v119, v[16:19] offset:3168
	;; [unrolled: 1-line block ×15, first 2 shown]
	global_wb scope:SCOPE_SE
	s_wait_dscnt 0x0
	s_barrier_signal -1
	s_barrier_wait -1
	global_inv scope:SCOPE_SE
	ds_load_b128 v[4:7], v118
	v_sub_nc_u32_e32 v16, 0, v0
                                        ; implicit-def: $vgpr0_vgpr1
                                        ; implicit-def: $vgpr12_vgpr13
                                        ; implicit-def: $vgpr14_vgpr15
	s_and_saveexec_b32 s1, s0
	s_wait_alu 0xfffe
	s_xor_b32 s0, exec_lo, s1
	s_cbranch_execz .LBB0_17
; %bb.16:
	global_load_b128 v[17:20], v[2:3], off offset:28336
	ds_load_b128 v[0:3], v16 offset:28512
	s_wait_dscnt 0x0
	v_add_f64_e64 v[12:13], v[4:5], -v[0:1]
	v_add_f64_e32 v[14:15], v[6:7], v[2:3]
	v_add_f64_e64 v[2:3], v[6:7], -v[2:3]
	v_add_f64_e32 v[0:1], v[4:5], v[0:1]
	s_delay_alu instid0(VALU_DEP_4) | instskip(NEXT) | instid1(VALU_DEP_4)
	v_mul_f64_e32 v[6:7], 0.5, v[12:13]
	v_mul_f64_e32 v[4:5], 0.5, v[14:15]
	s_delay_alu instid0(VALU_DEP_4) | instskip(SKIP_1) | instid1(VALU_DEP_3)
	v_mul_f64_e32 v[2:3], 0.5, v[2:3]
	s_wait_loadcnt 0x0
	v_mul_f64_e32 v[12:13], v[6:7], v[19:20]
	s_delay_alu instid0(VALU_DEP_2) | instskip(SKIP_1) | instid1(VALU_DEP_3)
	v_fma_f64 v[14:15], v[4:5], v[19:20], v[2:3]
	v_fma_f64 v[2:3], v[4:5], v[19:20], -v[2:3]
	v_fma_f64 v[21:22], v[0:1], 0.5, v[12:13]
	v_fma_f64 v[0:1], v[0:1], 0.5, -v[12:13]
	s_delay_alu instid0(VALU_DEP_4) | instskip(NEXT) | instid1(VALU_DEP_4)
	v_fma_f64 v[14:15], -v[17:18], v[6:7], v[14:15]
	v_fma_f64 v[2:3], -v[17:18], v[6:7], v[2:3]
	s_delay_alu instid0(VALU_DEP_4) | instskip(NEXT) | instid1(VALU_DEP_4)
	v_fma_f64 v[12:13], v[4:5], v[17:18], v[21:22]
	v_fma_f64 v[0:1], -v[4:5], v[17:18], v[0:1]
                                        ; implicit-def: $vgpr4_vgpr5
.LBB0_17:
	s_wait_alu 0xfffe
	s_and_not1_saveexec_b32 s0, s0
	s_cbranch_execz .LBB0_19
; %bb.18:
	s_wait_dscnt 0x0
	v_add_f64_e32 v[12:13], v[4:5], v[6:7]
	v_add_f64_e64 v[0:1], v[4:5], -v[6:7]
	v_mov_b32_e32 v6, 0
	v_mov_b32_e32 v14, 0
	;; [unrolled: 1-line block ×3, first 2 shown]
	s_delay_alu instid0(VALU_DEP_2)
	v_mov_b32_e32 v2, v14
	ds_load_b64 v[4:5], v6 offset:14264
	v_mov_b32_e32 v3, v15
	s_wait_dscnt 0x0
	v_xor_b32_e32 v5, 0x80000000, v5
	ds_store_b64 v6, v[4:5] offset:14264
.LBB0_19:
	s_wait_alu 0xfffe
	s_or_b32 exec_lo, exec_lo, s0
	s_wait_dscnt 0x0
	global_load_b128 v[4:7], v[10:11], off offset:28336
	s_add_nc_u64 s[0:1], s[4:5], 0x6eb0
	s_wait_alu 0xfffe
	v_add_co_u32 v21, s0, s0, v8
	s_wait_alu 0xf1ff
	v_add_co_ci_u32_e64 v22, s0, s1, v9, s0
	global_load_b128 v[17:20], v[21:22], off offset:3168
	ds_store_2addr_b64 v118, v[12:13], v[14:15] offset1:1
	ds_store_b128 v16, v[0:3] offset:28512
	ds_load_b128 v[0:3], v120
	ds_load_b128 v[10:13], v16 offset:26928
	s_wait_dscnt 0x0
	v_add_f64_e64 v[14:15], v[0:1], -v[10:11]
	v_add_f64_e32 v[23:24], v[2:3], v[12:13]
	v_add_f64_e64 v[2:3], v[2:3], -v[12:13]
	v_add_f64_e32 v[0:1], v[0:1], v[10:11]
	s_delay_alu instid0(VALU_DEP_4) | instskip(NEXT) | instid1(VALU_DEP_4)
	v_mul_f64_e32 v[12:13], 0.5, v[14:15]
	v_mul_f64_e32 v[14:15], 0.5, v[23:24]
	s_delay_alu instid0(VALU_DEP_4) | instskip(SKIP_1) | instid1(VALU_DEP_3)
	v_mul_f64_e32 v[2:3], 0.5, v[2:3]
	s_wait_loadcnt 0x1
	v_mul_f64_e32 v[10:11], v[12:13], v[6:7]
	s_delay_alu instid0(VALU_DEP_2) | instskip(SKIP_1) | instid1(VALU_DEP_3)
	v_fma_f64 v[23:24], v[14:15], v[6:7], v[2:3]
	v_fma_f64 v[2:3], v[14:15], v[6:7], -v[2:3]
	v_fma_f64 v[6:7], v[0:1], 0.5, v[10:11]
	v_fma_f64 v[0:1], v[0:1], 0.5, -v[10:11]
	s_delay_alu instid0(VALU_DEP_4) | instskip(NEXT) | instid1(VALU_DEP_4)
	v_fma_f64 v[10:11], -v[4:5], v[12:13], v[23:24]
	v_fma_f64 v[2:3], -v[4:5], v[12:13], v[2:3]
	s_delay_alu instid0(VALU_DEP_4) | instskip(NEXT) | instid1(VALU_DEP_4)
	v_fma_f64 v[12:13], v[14:15], v[4:5], v[6:7]
	v_fma_f64 v[0:1], -v[14:15], v[4:5], v[0:1]
	global_load_b128 v[4:7], v[21:22], off offset:4752
	ds_store_2addr_b64 v120, v[12:13], v[10:11] offset1:1
	ds_store_b128 v16, v[0:3] offset:26928
	ds_load_b128 v[0:3], v119 offset:3168
	ds_load_b128 v[10:13], v16 offset:25344
	s_wait_dscnt 0x0
	v_add_f64_e64 v[14:15], v[0:1], -v[10:11]
	v_add_f64_e32 v[23:24], v[2:3], v[12:13]
	v_add_f64_e64 v[2:3], v[2:3], -v[12:13]
	v_add_f64_e32 v[0:1], v[0:1], v[10:11]
	s_delay_alu instid0(VALU_DEP_4) | instskip(NEXT) | instid1(VALU_DEP_4)
	v_mul_f64_e32 v[12:13], 0.5, v[14:15]
	v_mul_f64_e32 v[14:15], 0.5, v[23:24]
	s_delay_alu instid0(VALU_DEP_4) | instskip(SKIP_1) | instid1(VALU_DEP_3)
	v_mul_f64_e32 v[2:3], 0.5, v[2:3]
	s_wait_loadcnt 0x1
	v_mul_f64_e32 v[10:11], v[12:13], v[19:20]
	s_delay_alu instid0(VALU_DEP_2) | instskip(SKIP_1) | instid1(VALU_DEP_3)
	v_fma_f64 v[23:24], v[14:15], v[19:20], v[2:3]
	v_fma_f64 v[2:3], v[14:15], v[19:20], -v[2:3]
	v_fma_f64 v[19:20], v[0:1], 0.5, v[10:11]
	v_fma_f64 v[0:1], v[0:1], 0.5, -v[10:11]
	s_delay_alu instid0(VALU_DEP_4) | instskip(NEXT) | instid1(VALU_DEP_4)
	v_fma_f64 v[10:11], -v[17:18], v[12:13], v[23:24]
	v_fma_f64 v[12:13], -v[17:18], v[12:13], v[2:3]
	s_delay_alu instid0(VALU_DEP_4) | instskip(NEXT) | instid1(VALU_DEP_4)
	v_fma_f64 v[19:20], v[14:15], v[17:18], v[19:20]
	v_fma_f64 v[14:15], -v[14:15], v[17:18], v[0:1]
	global_load_b128 v[0:3], v[21:22], off offset:6336
	ds_store_b64 v119, v[10:11] offset:3176
	ds_store_b64 v16, v[12:13] offset:25352
	ds_store_b64 v119, v[19:20] offset:3168
	ds_store_b64 v16, v[14:15] offset:25344
	ds_load_b128 v[10:13], v119 offset:4752
	ds_load_b128 v[17:20], v16 offset:23760
	s_wait_dscnt 0x0
	v_add_f64_e64 v[14:15], v[10:11], -v[17:18]
	v_add_f64_e32 v[23:24], v[12:13], v[19:20]
	v_add_f64_e64 v[12:13], v[12:13], -v[19:20]
	v_add_f64_e32 v[10:11], v[10:11], v[17:18]
	s_delay_alu instid0(VALU_DEP_4) | instskip(NEXT) | instid1(VALU_DEP_4)
	v_mul_f64_e32 v[14:15], 0.5, v[14:15]
	v_mul_f64_e32 v[19:20], 0.5, v[23:24]
	s_delay_alu instid0(VALU_DEP_4) | instskip(SKIP_1) | instid1(VALU_DEP_3)
	v_mul_f64_e32 v[12:13], 0.5, v[12:13]
	s_wait_loadcnt 0x1
	v_mul_f64_e32 v[17:18], v[14:15], v[6:7]
	s_delay_alu instid0(VALU_DEP_2) | instskip(SKIP_1) | instid1(VALU_DEP_3)
	v_fma_f64 v[23:24], v[19:20], v[6:7], v[12:13]
	v_fma_f64 v[6:7], v[19:20], v[6:7], -v[12:13]
	v_fma_f64 v[12:13], v[10:11], 0.5, v[17:18]
	v_fma_f64 v[10:11], v[10:11], 0.5, -v[17:18]
	s_delay_alu instid0(VALU_DEP_4) | instskip(NEXT) | instid1(VALU_DEP_4)
	v_fma_f64 v[17:18], -v[4:5], v[14:15], v[23:24]
	v_fma_f64 v[14:15], -v[4:5], v[14:15], v[6:7]
	s_delay_alu instid0(VALU_DEP_4) | instskip(NEXT) | instid1(VALU_DEP_4)
	v_fma_f64 v[12:13], v[19:20], v[4:5], v[12:13]
	v_fma_f64 v[10:11], -v[19:20], v[4:5], v[10:11]
	global_load_b128 v[4:7], v[21:22], off offset:7920
	ds_store_b64 v119, v[17:18] offset:4760
	ds_store_b64 v16, v[14:15] offset:23768
	ds_store_b64 v119, v[12:13] offset:4752
	ds_store_b64 v16, v[10:11] offset:23760
	ds_load_b128 v[10:13], v119 offset:6336
	ds_load_b128 v[17:20], v16 offset:22176
	s_wait_dscnt 0x0
	v_add_f64_e64 v[14:15], v[10:11], -v[17:18]
	v_add_f64_e32 v[23:24], v[12:13], v[19:20]
	v_add_f64_e64 v[12:13], v[12:13], -v[19:20]
	v_add_f64_e32 v[10:11], v[10:11], v[17:18]
	s_delay_alu instid0(VALU_DEP_4) | instskip(NEXT) | instid1(VALU_DEP_4)
	v_mul_f64_e32 v[14:15], 0.5, v[14:15]
	v_mul_f64_e32 v[19:20], 0.5, v[23:24]
	s_delay_alu instid0(VALU_DEP_4) | instskip(SKIP_1) | instid1(VALU_DEP_3)
	v_mul_f64_e32 v[12:13], 0.5, v[12:13]
	s_wait_loadcnt 0x1
	v_mul_f64_e32 v[17:18], v[14:15], v[2:3]
	s_delay_alu instid0(VALU_DEP_2) | instskip(SKIP_1) | instid1(VALU_DEP_3)
	v_fma_f64 v[23:24], v[19:20], v[2:3], v[12:13]
	v_fma_f64 v[2:3], v[19:20], v[2:3], -v[12:13]
	v_fma_f64 v[12:13], v[10:11], 0.5, v[17:18]
	v_fma_f64 v[10:11], v[10:11], 0.5, -v[17:18]
	s_delay_alu instid0(VALU_DEP_4) | instskip(NEXT) | instid1(VALU_DEP_4)
	v_fma_f64 v[17:18], -v[0:1], v[14:15], v[23:24]
	v_fma_f64 v[14:15], -v[0:1], v[14:15], v[2:3]
	s_delay_alu instid0(VALU_DEP_4) | instskip(NEXT) | instid1(VALU_DEP_4)
	v_fma_f64 v[12:13], v[19:20], v[0:1], v[12:13]
	v_fma_f64 v[10:11], -v[19:20], v[0:1], v[10:11]
	global_load_b128 v[0:3], v[21:22], off offset:9504
	ds_store_b64 v119, v[17:18] offset:6344
	ds_store_b64 v16, v[14:15] offset:22184
	ds_store_b64 v119, v[12:13] offset:6336
	ds_store_b64 v16, v[10:11] offset:22176
	ds_load_b128 v[10:13], v119 offset:7920
	ds_load_b128 v[17:20], v16 offset:20592
	s_wait_dscnt 0x0
	v_add_f64_e64 v[14:15], v[10:11], -v[17:18]
	v_add_f64_e32 v[23:24], v[12:13], v[19:20]
	v_add_f64_e64 v[12:13], v[12:13], -v[19:20]
	v_add_f64_e32 v[10:11], v[10:11], v[17:18]
	s_delay_alu instid0(VALU_DEP_4) | instskip(NEXT) | instid1(VALU_DEP_4)
	v_mul_f64_e32 v[14:15], 0.5, v[14:15]
	v_mul_f64_e32 v[19:20], 0.5, v[23:24]
	s_delay_alu instid0(VALU_DEP_4) | instskip(SKIP_1) | instid1(VALU_DEP_3)
	v_mul_f64_e32 v[12:13], 0.5, v[12:13]
	s_wait_loadcnt 0x1
	v_mul_f64_e32 v[17:18], v[14:15], v[6:7]
	s_delay_alu instid0(VALU_DEP_2) | instskip(SKIP_1) | instid1(VALU_DEP_3)
	v_fma_f64 v[23:24], v[19:20], v[6:7], v[12:13]
	v_fma_f64 v[6:7], v[19:20], v[6:7], -v[12:13]
	v_fma_f64 v[12:13], v[10:11], 0.5, v[17:18]
	v_fma_f64 v[10:11], v[10:11], 0.5, -v[17:18]
	s_delay_alu instid0(VALU_DEP_4) | instskip(NEXT) | instid1(VALU_DEP_4)
	v_fma_f64 v[17:18], -v[4:5], v[14:15], v[23:24]
	v_fma_f64 v[14:15], -v[4:5], v[14:15], v[6:7]
	s_delay_alu instid0(VALU_DEP_4) | instskip(NEXT) | instid1(VALU_DEP_4)
	v_fma_f64 v[12:13], v[19:20], v[4:5], v[12:13]
	v_fma_f64 v[10:11], -v[19:20], v[4:5], v[10:11]
	global_load_b128 v[4:7], v[21:22], off offset:11088
	ds_store_b64 v119, v[17:18] offset:7928
	ds_store_b64 v16, v[14:15] offset:20600
	ds_store_b64 v119, v[12:13] offset:7920
	ds_store_b64 v16, v[10:11] offset:20592
	ds_load_b128 v[10:13], v119 offset:9504
	ds_load_b128 v[17:20], v16 offset:19008
	s_wait_dscnt 0x0
	v_add_f64_e64 v[14:15], v[10:11], -v[17:18]
	v_add_f64_e32 v[23:24], v[12:13], v[19:20]
	v_add_f64_e64 v[12:13], v[12:13], -v[19:20]
	v_add_f64_e32 v[10:11], v[10:11], v[17:18]
	s_delay_alu instid0(VALU_DEP_4) | instskip(NEXT) | instid1(VALU_DEP_4)
	v_mul_f64_e32 v[14:15], 0.5, v[14:15]
	v_mul_f64_e32 v[19:20], 0.5, v[23:24]
	s_delay_alu instid0(VALU_DEP_4) | instskip(SKIP_1) | instid1(VALU_DEP_3)
	v_mul_f64_e32 v[12:13], 0.5, v[12:13]
	s_wait_loadcnt 0x1
	v_mul_f64_e32 v[17:18], v[14:15], v[2:3]
	s_delay_alu instid0(VALU_DEP_2) | instskip(SKIP_1) | instid1(VALU_DEP_3)
	v_fma_f64 v[23:24], v[19:20], v[2:3], v[12:13]
	v_fma_f64 v[2:3], v[19:20], v[2:3], -v[12:13]
	v_fma_f64 v[12:13], v[10:11], 0.5, v[17:18]
	v_fma_f64 v[10:11], v[10:11], 0.5, -v[17:18]
	s_delay_alu instid0(VALU_DEP_4) | instskip(NEXT) | instid1(VALU_DEP_4)
	v_fma_f64 v[17:18], -v[0:1], v[14:15], v[23:24]
	v_fma_f64 v[14:15], -v[0:1], v[14:15], v[2:3]
	s_delay_alu instid0(VALU_DEP_4) | instskip(NEXT) | instid1(VALU_DEP_4)
	v_fma_f64 v[12:13], v[19:20], v[0:1], v[12:13]
	v_fma_f64 v[10:11], -v[19:20], v[0:1], v[10:11]
	global_load_b128 v[0:3], v[21:22], off offset:12672
	ds_store_b64 v119, v[17:18] offset:9512
	ds_store_b64 v16, v[14:15] offset:19016
	ds_store_b64 v119, v[12:13] offset:9504
	ds_store_b64 v16, v[10:11] offset:19008
	ds_load_b128 v[10:13], v118 offset:11088
	ds_load_b128 v[17:20], v16 offset:17424
	s_wait_dscnt 0x0
	v_add_f64_e64 v[14:15], v[10:11], -v[17:18]
	v_add_f64_e32 v[21:22], v[12:13], v[19:20]
	v_add_f64_e64 v[12:13], v[12:13], -v[19:20]
	v_add_f64_e32 v[10:11], v[10:11], v[17:18]
	s_delay_alu instid0(VALU_DEP_4) | instskip(NEXT) | instid1(VALU_DEP_4)
	v_mul_f64_e32 v[14:15], 0.5, v[14:15]
	v_mul_f64_e32 v[19:20], 0.5, v[21:22]
	s_delay_alu instid0(VALU_DEP_4) | instskip(SKIP_1) | instid1(VALU_DEP_3)
	v_mul_f64_e32 v[12:13], 0.5, v[12:13]
	s_wait_loadcnt 0x1
	v_mul_f64_e32 v[17:18], v[14:15], v[6:7]
	s_delay_alu instid0(VALU_DEP_2) | instskip(SKIP_1) | instid1(VALU_DEP_3)
	v_fma_f64 v[21:22], v[19:20], v[6:7], v[12:13]
	v_fma_f64 v[6:7], v[19:20], v[6:7], -v[12:13]
	v_fma_f64 v[12:13], v[10:11], 0.5, v[17:18]
	v_fma_f64 v[10:11], v[10:11], 0.5, -v[17:18]
	s_delay_alu instid0(VALU_DEP_4) | instskip(NEXT) | instid1(VALU_DEP_4)
	v_fma_f64 v[17:18], -v[4:5], v[14:15], v[21:22]
	v_fma_f64 v[6:7], -v[4:5], v[14:15], v[6:7]
	s_delay_alu instid0(VALU_DEP_4) | instskip(NEXT) | instid1(VALU_DEP_4)
	v_fma_f64 v[12:13], v[19:20], v[4:5], v[12:13]
	v_fma_f64 v[4:5], -v[19:20], v[4:5], v[10:11]
	v_add_nc_u32_e32 v10, 0x2800, v118
	ds_store_2addr_b64 v10, v[12:13], v[17:18] offset0:106 offset1:107
	ds_store_b128 v16, v[4:7] offset:17424
	ds_load_b128 v[4:7], v118 offset:12672
	ds_load_b128 v[10:13], v16 offset:15840
	s_wait_dscnt 0x0
	v_add_f64_e64 v[14:15], v[4:5], -v[10:11]
	v_add_f64_e32 v[17:18], v[6:7], v[12:13]
	v_add_f64_e64 v[6:7], v[6:7], -v[12:13]
	v_add_f64_e32 v[4:5], v[4:5], v[10:11]
	s_delay_alu instid0(VALU_DEP_4) | instskip(NEXT) | instid1(VALU_DEP_4)
	v_mul_f64_e32 v[12:13], 0.5, v[14:15]
	v_mul_f64_e32 v[14:15], 0.5, v[17:18]
	s_delay_alu instid0(VALU_DEP_4) | instskip(SKIP_1) | instid1(VALU_DEP_3)
	v_mul_f64_e32 v[6:7], 0.5, v[6:7]
	s_wait_loadcnt 0x0
	v_mul_f64_e32 v[10:11], v[12:13], v[2:3]
	s_delay_alu instid0(VALU_DEP_2) | instskip(SKIP_1) | instid1(VALU_DEP_3)
	v_fma_f64 v[17:18], v[14:15], v[2:3], v[6:7]
	v_fma_f64 v[2:3], v[14:15], v[2:3], -v[6:7]
	v_fma_f64 v[6:7], v[4:5], 0.5, v[10:11]
	v_fma_f64 v[4:5], v[4:5], 0.5, -v[10:11]
	s_delay_alu instid0(VALU_DEP_4) | instskip(NEXT) | instid1(VALU_DEP_4)
	v_fma_f64 v[10:11], -v[0:1], v[12:13], v[17:18]
	v_fma_f64 v[2:3], -v[0:1], v[12:13], v[2:3]
	s_delay_alu instid0(VALU_DEP_4) | instskip(NEXT) | instid1(VALU_DEP_4)
	v_fma_f64 v[6:7], v[14:15], v[0:1], v[6:7]
	v_fma_f64 v[0:1], -v[14:15], v[0:1], v[4:5]
	v_add_nc_u32_e32 v4, 0x3000, v118
	ds_store_2addr_b64 v4, v[6:7], v[10:11] offset0:48 offset1:49
	ds_store_b128 v16, v[0:3] offset:15840
	global_wb scope:SCOPE_SE
	s_wait_dscnt 0x0
	s_barrier_signal -1
	s_barrier_wait -1
	global_inv scope:SCOPE_SE
	s_and_saveexec_b32 s0, vcc_lo
	s_cbranch_execz .LBB0_22
; %bb.20:
	v_add_co_u32 v0, vcc_lo, s8, v114
	s_wait_alu 0xfffd
	v_add_co_ci_u32_e32 v1, vcc_lo, s9, v115, vcc_lo
	ds_load_b128 v[2:5], v118
	ds_load_b128 v[10:13], v118 offset:1584
	ds_load_b128 v[14:17], v118 offset:3168
	;; [unrolled: 1-line block ×13, first 2 shown]
	v_add_co_u32 v74, vcc_lo, v0, v8
	s_wait_alu 0xfffd
	v_add_co_ci_u32_e32 v75, vcc_lo, v1, v9, vcc_lo
	ds_load_b128 v[6:9], v118 offset:22176
	ds_load_b128 v[62:65], v118 offset:23760
	;; [unrolled: 1-line block ×4, first 2 shown]
	v_cmp_eq_u32_e32 vcc_lo, 0x62, v112
	s_wait_dscnt 0x11
	global_store_b128 v[74:75], v[2:5], off
	s_wait_dscnt 0x10
	global_store_b128 v[74:75], v[10:13], off offset:1584
	s_wait_dscnt 0xf
	global_store_b128 v[74:75], v[14:17], off offset:3168
	;; [unrolled: 2-line block ×17, first 2 shown]
	s_and_b32 exec_lo, exec_lo, vcc_lo
	s_cbranch_execz .LBB0_22
; %bb.21:
	v_mov_b32_e32 v2, 0
	ds_load_b128 v[2:5], v2 offset:28512
	s_wait_dscnt 0x0
	global_store_b128 v[0:1], v[2:5], off offset:28512
.LBB0_22:
	s_nop 0
	s_sendmsg sendmsg(MSG_DEALLOC_VGPRS)
	s_endpgm
	.section	.rodata,"a",@progbits
	.p2align	6, 0x0
	.amdhsa_kernel fft_rtc_fwd_len1782_factors_11_3_3_3_3_2_wgs_99_tpt_99_halfLds_dp_ip_CI_unitstride_sbrr_R2C_dirReg
		.amdhsa_group_segment_fixed_size 0
		.amdhsa_private_segment_fixed_size 0
		.amdhsa_kernarg_size 88
		.amdhsa_user_sgpr_count 2
		.amdhsa_user_sgpr_dispatch_ptr 0
		.amdhsa_user_sgpr_queue_ptr 0
		.amdhsa_user_sgpr_kernarg_segment_ptr 1
		.amdhsa_user_sgpr_dispatch_id 0
		.amdhsa_user_sgpr_private_segment_size 0
		.amdhsa_wavefront_size32 1
		.amdhsa_uses_dynamic_stack 0
		.amdhsa_enable_private_segment 0
		.amdhsa_system_sgpr_workgroup_id_x 1
		.amdhsa_system_sgpr_workgroup_id_y 0
		.amdhsa_system_sgpr_workgroup_id_z 0
		.amdhsa_system_sgpr_workgroup_info 0
		.amdhsa_system_vgpr_workitem_id 0
		.amdhsa_next_free_vgpr 233
		.amdhsa_next_free_sgpr 36
		.amdhsa_reserve_vcc 1
		.amdhsa_float_round_mode_32 0
		.amdhsa_float_round_mode_16_64 0
		.amdhsa_float_denorm_mode_32 3
		.amdhsa_float_denorm_mode_16_64 3
		.amdhsa_fp16_overflow 0
		.amdhsa_workgroup_processor_mode 1
		.amdhsa_memory_ordered 1
		.amdhsa_forward_progress 0
		.amdhsa_round_robin_scheduling 0
		.amdhsa_exception_fp_ieee_invalid_op 0
		.amdhsa_exception_fp_denorm_src 0
		.amdhsa_exception_fp_ieee_div_zero 0
		.amdhsa_exception_fp_ieee_overflow 0
		.amdhsa_exception_fp_ieee_underflow 0
		.amdhsa_exception_fp_ieee_inexact 0
		.amdhsa_exception_int_div_zero 0
	.end_amdhsa_kernel
	.text
.Lfunc_end0:
	.size	fft_rtc_fwd_len1782_factors_11_3_3_3_3_2_wgs_99_tpt_99_halfLds_dp_ip_CI_unitstride_sbrr_R2C_dirReg, .Lfunc_end0-fft_rtc_fwd_len1782_factors_11_3_3_3_3_2_wgs_99_tpt_99_halfLds_dp_ip_CI_unitstride_sbrr_R2C_dirReg
                                        ; -- End function
	.section	.AMDGPU.csdata,"",@progbits
; Kernel info:
; codeLenInByte = 16004
; NumSgprs: 38
; NumVgprs: 233
; ScratchSize: 0
; MemoryBound: 0
; FloatMode: 240
; IeeeMode: 1
; LDSByteSize: 0 bytes/workgroup (compile time only)
; SGPRBlocks: 4
; VGPRBlocks: 29
; NumSGPRsForWavesPerEU: 38
; NumVGPRsForWavesPerEU: 233
; Occupancy: 6
; WaveLimiterHint : 1
; COMPUTE_PGM_RSRC2:SCRATCH_EN: 0
; COMPUTE_PGM_RSRC2:USER_SGPR: 2
; COMPUTE_PGM_RSRC2:TRAP_HANDLER: 0
; COMPUTE_PGM_RSRC2:TGID_X_EN: 1
; COMPUTE_PGM_RSRC2:TGID_Y_EN: 0
; COMPUTE_PGM_RSRC2:TGID_Z_EN: 0
; COMPUTE_PGM_RSRC2:TIDIG_COMP_CNT: 0
	.text
	.p2alignl 7, 3214868480
	.fill 96, 4, 3214868480
	.type	__hip_cuid_2ca4eba7c5056435,@object ; @__hip_cuid_2ca4eba7c5056435
	.section	.bss,"aw",@nobits
	.globl	__hip_cuid_2ca4eba7c5056435
__hip_cuid_2ca4eba7c5056435:
	.byte	0                               ; 0x0
	.size	__hip_cuid_2ca4eba7c5056435, 1

	.ident	"AMD clang version 19.0.0git (https://github.com/RadeonOpenCompute/llvm-project roc-6.4.0 25133 c7fe45cf4b819c5991fe208aaa96edf142730f1d)"
	.section	".note.GNU-stack","",@progbits
	.addrsig
	.addrsig_sym __hip_cuid_2ca4eba7c5056435
	.amdgpu_metadata
---
amdhsa.kernels:
  - .args:
      - .actual_access:  read_only
        .address_space:  global
        .offset:         0
        .size:           8
        .value_kind:     global_buffer
      - .offset:         8
        .size:           8
        .value_kind:     by_value
      - .actual_access:  read_only
        .address_space:  global
        .offset:         16
        .size:           8
        .value_kind:     global_buffer
      - .actual_access:  read_only
        .address_space:  global
        .offset:         24
        .size:           8
        .value_kind:     global_buffer
      - .offset:         32
        .size:           8
        .value_kind:     by_value
      - .actual_access:  read_only
        .address_space:  global
        .offset:         40
        .size:           8
        .value_kind:     global_buffer
      - .actual_access:  read_only
        .address_space:  global
        .offset:         48
        .size:           8
        .value_kind:     global_buffer
      - .offset:         56
        .size:           4
        .value_kind:     by_value
      - .actual_access:  read_only
        .address_space:  global
        .offset:         64
        .size:           8
        .value_kind:     global_buffer
      - .actual_access:  read_only
        .address_space:  global
        .offset:         72
        .size:           8
        .value_kind:     global_buffer
      - .address_space:  global
        .offset:         80
        .size:           8
        .value_kind:     global_buffer
    .group_segment_fixed_size: 0
    .kernarg_segment_align: 8
    .kernarg_segment_size: 88
    .language:       OpenCL C
    .language_version:
      - 2
      - 0
    .max_flat_workgroup_size: 99
    .name:           fft_rtc_fwd_len1782_factors_11_3_3_3_3_2_wgs_99_tpt_99_halfLds_dp_ip_CI_unitstride_sbrr_R2C_dirReg
    .private_segment_fixed_size: 0
    .sgpr_count:     38
    .sgpr_spill_count: 0
    .symbol:         fft_rtc_fwd_len1782_factors_11_3_3_3_3_2_wgs_99_tpt_99_halfLds_dp_ip_CI_unitstride_sbrr_R2C_dirReg.kd
    .uniform_work_group_size: 1
    .uses_dynamic_stack: false
    .vgpr_count:     233
    .vgpr_spill_count: 0
    .wavefront_size: 32
    .workgroup_processor_mode: 1
amdhsa.target:   amdgcn-amd-amdhsa--gfx1201
amdhsa.version:
  - 1
  - 2
...

	.end_amdgpu_metadata
